;; amdgpu-corpus repo=ROCm/rocFFT kind=compiled arch=gfx1100 opt=O3
	.text
	.amdgcn_target "amdgcn-amd-amdhsa--gfx1100"
	.amdhsa_code_object_version 6
	.protected	bluestein_single_fwd_len480_dim1_sp_op_CI_CI ; -- Begin function bluestein_single_fwd_len480_dim1_sp_op_CI_CI
	.globl	bluestein_single_fwd_len480_dim1_sp_op_CI_CI
	.p2align	8
	.type	bluestein_single_fwd_len480_dim1_sp_op_CI_CI,@function
bluestein_single_fwd_len480_dim1_sp_op_CI_CI: ; @bluestein_single_fwd_len480_dim1_sp_op_CI_CI
; %bb.0:
	s_load_b128 s[16:19], s[0:1], 0x28
	v_lshrrev_b32_e32 v1, 4, v0
	v_mov_b32_e32 v111, 0
	s_mov_b32 s2, exec_lo
	s_delay_alu instid0(VALU_DEP_2) | instskip(NEXT) | instid1(VALU_DEP_2)
	v_lshl_or_b32 v152, s15, 2, v1
	v_mov_b32_e32 v153, v111
	s_waitcnt lgkmcnt(0)
	s_delay_alu instid0(VALU_DEP_1)
	v_cmpx_gt_u64_e64 s[16:17], v[152:153]
	s_cbranch_execz .LBB0_10
; %bb.1:
	s_load_b128 s[4:7], s[0:1], 0x18
	v_mul_u32_u24_e32 v162, 0x1e0, v1
	s_waitcnt lgkmcnt(0)
	s_load_b128 s[12:15], s[4:5], 0x0
	s_load_b128 s[8:11], s[0:1], 0x0
	s_waitcnt lgkmcnt(0)
	v_mad_u64_u32 v[2:3], null, s14, v152, 0
	v_and_b32_e32 v159, 15, v0
	s_mul_i32 s3, s13, 0x180
	s_mul_hi_u32 s4, s12, 0x180
	s_mul_i32 s2, s12, 0x180
	s_add_i32 s3, s4, s3
	s_mul_i32 s4, s13, 0xfffff300
	s_delay_alu instid0(VALU_DEP_2)
	v_mov_b32_e32 v0, v3
	v_mad_u64_u32 v[4:5], null, s12, v159, 0
	s_sub_i32 s4, s4, s12
	v_or_b32_e32 v118, 16, v159
	v_or_b32_e32 v117, 32, v159
	v_lshlrev_b32_e32 v116, 3, v159
	s_clause 0x1
	global_load_b64 v[66:67], v116, s[8:9] offset:384
	global_load_b64 v[72:73], v116, s[8:9] offset:1920
	v_mov_b32_e32 v3, v5
	v_mad_u64_u32 v[5:6], null, s15, v152, v[0:1]
	s_clause 0x3
	global_load_b64 v[64:65], v116, s[8:9] offset:3456
	global_load_b64 v[191:192], v116, s[8:9]
	global_load_b64 v[68:69], v116, s[8:9] offset:128
	global_load_b64 v[70:71], v116, s[8:9] offset:512
	v_mad_u64_u32 v[6:7], null, s13, v159, v[3:4]
	s_clause 0x3
	global_load_b64 v[195:196], v116, s[8:9] offset:768
	global_load_b64 v[173:174], v116, s[8:9] offset:896
	;; [unrolled: 1-line block ×4, first 2 shown]
	v_mov_b32_e32 v3, v5
	s_clause 0x4
	global_load_b64 v[207:208], v116, s[8:9] offset:1536
	global_load_b64 v[167:168], v116, s[8:9] offset:1664
	;; [unrolled: 1-line block ×5, first 2 shown]
	v_mov_b32_e32 v5, v6
	v_lshlrev_b64 v[2:3], 3, v[2:3]
	s_clause 0x1
	global_load_b64 v[197:198], v116, s[8:9] offset:2688
	global_load_b64 v[163:164], v116, s[8:9] offset:2816
	v_lshl_or_b32 v236, v162, 3, v116
	v_or_b32_e32 v1, v162, v159
	v_lshlrev_b64 v[4:5], 3, v[4:5]
	v_add_co_u32 v0, vcc_lo, s18, v2
	v_add_co_ci_u32_e32 v3, vcc_lo, s19, v3, vcc_lo
	s_delay_alu instid0(VALU_DEP_2) | instskip(NEXT) | instid1(VALU_DEP_2)
	v_add_co_u32 v2, vcc_lo, v0, v4
	v_add_co_ci_u32_e32 v3, vcc_lo, v3, v5, vcc_lo
	s_delay_alu instid0(VALU_DEP_2) | instskip(NEXT) | instid1(VALU_DEP_2)
	v_add_co_u32 v4, vcc_lo, v2, s2
	v_add_co_ci_u32_e32 v5, vcc_lo, s3, v3, vcc_lo
	global_load_b64 v[2:3], v[2:3], off
	v_add_co_u32 v6, vcc_lo, v4, s2
	v_add_co_ci_u32_e32 v7, vcc_lo, s3, v5, vcc_lo
	global_load_b64 v[4:5], v[4:5], off
	v_add_co_u32 v8, vcc_lo, v6, s2
	v_add_co_ci_u32_e32 v9, vcc_lo, s3, v7, vcc_lo
	s_clause 0x2
	global_load_b64 v[205:206], v116, s[8:9] offset:3072
	global_load_b64 v[175:176], v116, s[8:9] offset:3200
	;; [unrolled: 1-line block ×3, first 2 shown]
	global_load_b64 v[6:7], v[6:7], off
	v_add_co_u32 v10, vcc_lo, v8, s2
	v_add_co_ci_u32_e32 v11, vcc_lo, s3, v9, vcc_lo
	global_load_b64 v[8:9], v[8:9], off
	v_add_co_u32 v12, vcc_lo, v10, s2
	v_add_co_ci_u32_e32 v13, vcc_lo, s3, v11, vcc_lo
	global_load_b64 v[169:170], v116, s[8:9] offset:256
	v_add_co_u32 v14, vcc_lo, v12, s2
	v_add_co_ci_u32_e32 v15, vcc_lo, s3, v13, vcc_lo
	v_lshlrev_b32_e32 v160, 3, v1
	s_delay_alu instid0(VALU_DEP_3) | instskip(NEXT) | instid1(VALU_DEP_3)
	v_add_co_u32 v16, vcc_lo, v14, s2
	v_add_co_ci_u32_e32 v17, vcc_lo, s3, v15, vcc_lo
	global_load_b64 v[10:11], v[10:11], off
	global_load_b64 v[12:13], v[12:13], off
	;; [unrolled: 1-line block ×3, first 2 shown]
	v_add_co_u32 v18, vcc_lo, v16, s2
	v_add_co_ci_u32_e32 v19, vcc_lo, s3, v17, vcc_lo
	global_load_b64 v[16:17], v[16:17], off
	v_add_co_u32 v20, vcc_lo, v18, s2
	v_add_co_ci_u32_e32 v21, vcc_lo, s3, v19, vcc_lo
	global_load_b64 v[18:19], v[18:19], off
	v_add_nc_u32_e32 v104, 0x800, v236
	v_mad_u64_u32 v[22:23], null, 0xfffff300, s12, v[20:21]
	global_load_b64 v[20:21], v[20:21], off
	v_add_co_u32 v24, vcc_lo, v22, s2
	s_waitcnt vmcnt(13)
	v_mul_f32_e32 v0, v3, v192
	v_mul_f32_e32 v62, v2, v192
	s_delay_alu instid0(VALU_DEP_2)
	v_dual_fmac_f32 v0, v2, v191 :: v_dual_add_nc_u32 v63, 0x400, v236
	s_waitcnt vmcnt(12)
	v_mul_f32_e32 v2, v5, v67
	v_add_nc_u32_e32 v23, s4, v23
	v_fma_f32 v1, v3, v191, -v62
	v_mul_f32_e32 v3, v4, v67
	s_delay_alu instid0(VALU_DEP_4) | instskip(NEXT) | instid1(VALU_DEP_4)
	v_fmac_f32_e32 v2, v4, v66
	v_add_co_ci_u32_e32 v25, vcc_lo, s3, v23, vcc_lo
	v_add_co_u32 v26, vcc_lo, v24, s2
	global_load_b64 v[22:23], v[22:23], off
	v_add_co_ci_u32_e32 v27, vcc_lo, s3, v25, vcc_lo
	v_add_co_u32 v28, vcc_lo, v26, s2
	global_load_b64 v[24:25], v[24:25], off
	;; [unrolled: 3-line block ×6, first 2 shown]
	v_add_co_ci_u32_e32 v37, vcc_lo, s3, v35, vcc_lo
	v_add_co_u32 v38, vcc_lo, v36, s2
	s_clause 0x2
	global_load_b64 v[181:182], v116, s[8:9] offset:640
	global_load_b64 v[183:184], v116, s[8:9] offset:1408
	;; [unrolled: 1-line block ×3, first 2 shown]
	v_add_co_ci_u32_e32 v39, vcc_lo, s3, v37, vcc_lo
	v_add_co_u32 v40, vcc_lo, v38, s2
	v_fma_f32 v3, v5, v66, -v3
	s_delay_alu instid0(VALU_DEP_3)
	v_add_co_ci_u32_e32 v41, vcc_lo, s3, v39, vcc_lo
	global_load_b64 v[36:37], v[36:37], off
	global_load_b64 v[187:188], v116, s[8:9] offset:1792
	global_load_b64 v[34:35], v[34:35], off
	s_clause 0x2
	global_load_b64 v[189:190], v116, s[8:9] offset:2176
	global_load_b64 v[193:194], v116, s[8:9] offset:2944
	;; [unrolled: 1-line block ×3, first 2 shown]
	global_load_b64 v[38:39], v[38:39], off
	s_waitcnt vmcnt(23)
	v_mul_f32_e32 v4, v9, v202
	v_mul_f32_e32 v5, v8, v202
	v_mad_u64_u32 v[42:43], null, 0xfffff300, s12, v[40:41]
	global_load_b64 v[40:41], v[40:41], off
	v_fma_f32 v5, v9, v201, -v5
	s_waitcnt vmcnt(21)
	v_mul_f32_e32 v9, v12, v73
	v_add_nc_u32_e32 v43, s4, v43
	v_add_co_u32 v44, vcc_lo, v42, s2
	s_delay_alu instid0(VALU_DEP_3) | instskip(NEXT) | instid1(VALU_DEP_3)
	v_fma_f32 v9, v13, v72, -v9
	v_add_co_ci_u32_e32 v45, vcc_lo, s3, v43, vcc_lo
	s_delay_alu instid0(VALU_DEP_3)
	v_add_co_u32 v46, vcc_lo, v44, s2
	global_load_b64 v[42:43], v[42:43], off
	v_add_co_ci_u32_e32 v47, vcc_lo, s3, v45, vcc_lo
	v_add_co_u32 v48, vcc_lo, v46, s2
	global_load_b64 v[44:45], v[44:45], off
	v_add_co_ci_u32_e32 v49, vcc_lo, s3, v47, vcc_lo
	;; [unrolled: 3-line block ×8, first 2 shown]
	global_load_b64 v[209:210], v116, s[8:9] offset:3328
	global_load_b64 v[58:59], v[58:59], off
	global_load_b64 v[211:212], v116, s[8:9] offset:3712
	global_load_b64 v[60:61], v[60:61], off
	ds_store_b64 v160, v[0:1]
	v_mul_f32_e32 v0, v7, v196
	v_mul_f32_e32 v1, v6, v196
	s_load_b128 s[4:7], s[6:7], 0x0
	s_clause 0x2
	scratch_store_b64 off, v[66:67], off offset:12
	scratch_store_b64 off, v[68:69], off offset:20
	;; [unrolled: 1-line block ×3, first 2 shown]
	v_fma_f32 v1, v7, v195, -v1
	v_mul_f32_e32 v7, v10, v208
	v_fmac_f32_e32 v0, v6, v195
	v_mul_f32_e32 v6, v11, v208
	v_fmac_f32_e32 v4, v8, v201
	v_mul_f32_e32 v8, v13, v73
	v_fma_f32 v7, v11, v207, -v7
	s_waitcnt vmcnt(32)
	v_mul_f32_e32 v11, v14, v204
	s_waitcnt vmcnt(31)
	v_dual_mul_f32 v13, v16, v198 :: v_dual_fmac_f32 v6, v10, v207
	v_mul_f32_e32 v10, v15, v204
	scratch_store_b64 off, v[72:73], off offset:36 ; 8-byte Folded Spill
	v_fma_f32 v11, v15, v203, -v11
	s_waitcnt vmcnt(30)
	v_dual_mul_f32 v15, v18, v206 :: v_dual_fmac_f32 v8, v12, v72
	v_mul_f32_e32 v12, v17, v198
	v_fma_f32 v13, v17, v197, -v13
	s_waitcnt vmcnt(29)
	v_dual_mul_f32 v17, v20, v65 :: v_dual_fmac_f32 v10, v14, v203
	v_mul_f32_e32 v14, v19, v206
	v_fmac_f32_e32 v12, v16, v197
	v_mul_f32_e32 v16, v21, v65
	s_delay_alu instid0(VALU_DEP_4)
	v_fma_f32 v17, v21, v64, -v17
	v_fma_f32 v15, v19, v205, -v15
	scratch_store_b64 off, v[64:65], off offset:4 ; 8-byte Folded Spill
	s_load_b64 s[2:3], s[0:1], 0x38
	s_waitcnt vmcnt(28)
	v_dual_fmac_f32 v16, v20, v64 :: v_dual_mul_f32 v19, v22, v69
	s_waitcnt vmcnt(27)
	v_mul_f32_e32 v20, v25, v71
	v_mul_f32_e32 v62, v24, v71
	s_delay_alu instid0(VALU_DEP_3) | instskip(NEXT) | instid1(VALU_DEP_3)
	v_fma_f32 v19, v23, v68, -v19
	v_fmac_f32_e32 v20, v24, v70
	s_delay_alu instid0(VALU_DEP_3)
	v_fma_f32 v21, v25, v70, -v62
	s_waitcnt vmcnt(25)
	v_mul_f32_e32 v24, v29, v178
	v_mul_f32_e32 v25, v28, v178
	ds_store_2addr_b64 v236, v[2:3], v[20:21] offset0:48 offset1:64
	v_fmac_f32_e32 v24, v28, v177
	v_fma_f32 v25, v29, v177, -v25
	s_waitcnt vmcnt(24)
	v_mul_f32_e32 v2, v31, v168
	v_mul_f32_e32 v3, v30, v168
	s_waitcnt vmcnt(23)
	v_mul_f32_e32 v20, v33, v172
	ds_store_2addr_b64 v236, v[4:5], v[24:25] offset0:144 offset1:160
	v_dual_mul_f32 v21, v32, v172 :: v_dual_fmac_f32 v14, v18, v205
	v_mul_f32_e32 v18, v23, v69
	v_dual_fmac_f32 v20, v32, v171 :: v_dual_mul_f32 v23, v26, v174
	s_waitcnt vmcnt(19)
	v_mul_f32_e32 v4, v37, v164
	v_mul_f32_e32 v5, v36, v164
	s_waitcnt vmcnt(17)
	v_mul_f32_e32 v25, v34, v180
	v_fma_f32 v21, v33, v171, -v21
	v_fma_f32 v23, v27, v173, -v23
	v_fmac_f32_e32 v4, v36, v163
	v_fma_f32 v5, v37, v163, -v5
	v_fmac_f32_e32 v2, v30, v167
	ds_store_2addr_b64 v63, v[8:9], v[20:21] offset0:112 offset1:128
	s_waitcnt vmcnt(13)
	v_mul_f32_e32 v9, v38, v176
	v_fmac_f32_e32 v18, v22, v68
	ds_store_2addr_b64 v104, v[12:13], v[4:5] offset0:80 offset1:96
	s_waitcnt vmcnt(12)
	v_mul_f32_e32 v4, v41, v166
	v_mul_f32_e32 v5, v40, v166
	;; [unrolled: 1-line block ×3, first 2 shown]
	v_fma_f32 v3, v31, v167, -v3
	v_mul_f32_e32 v24, v35, v180
	v_fmac_f32_e32 v4, v40, v165
	v_fma_f32 v5, v41, v165, -v5
	v_mul_f32_e32 v8, v39, v176
	v_fma_f32 v25, v35, v179, -v25
	v_fmac_f32_e32 v24, v34, v179
	v_fma_f32 v9, v39, v175, -v9
	s_delay_alu instid0(VALU_DEP_4)
	v_fmac_f32_e32 v8, v38, v175
	s_waitcnt vmcnt(11)
	v_mul_f32_e32 v12, v43, v170
	v_mul_f32_e32 v13, v42, v170
	ds_store_2addr_b64 v104, v[16:17], v[4:5] offset0:176 offset1:192
	s_waitcnt vmcnt(10)
	v_mul_f32_e32 v20, v45, v182
	v_dual_mul_f32 v5, v44, v182 :: v_dual_fmac_f32 v12, v42, v169
	v_fma_f32 v13, v43, v169, -v13
	s_delay_alu instid0(VALU_DEP_3) | instskip(NEXT) | instid1(VALU_DEP_3)
	v_fmac_f32_e32 v20, v44, v181
	v_fma_f32 v21, v45, v181, -v5
	s_waitcnt vmcnt(8)
	v_dual_mul_f32 v4, v47, v186 :: v_dual_mul_f32 v17, v48, v184
	ds_store_2addr_b64 v236, v[20:21], v[0:1] offset0:80 offset1:96
	v_fmac_f32_e32 v22, v26, v173
	v_fmac_f32_e32 v4, v46, v185
	s_waitcnt vmcnt(6)
	v_dual_mul_f32 v16, v51, v188 :: v_dual_mul_f32 v1, v52, v190
	ds_store_2addr_b64 v236, v[18:19], v[12:13] offset0:16 offset1:32
	v_mul_f32_e32 v13, v46, v186
	v_mul_f32_e32 v18, v50, v188
	;; [unrolled: 1-line block ×3, first 2 shown]
	v_fmac_f32_e32 v16, v50, v187
	v_mul_f32_e32 v0, v53, v190
	v_fma_f32 v5, v47, v185, -v13
	v_fma_f32 v13, v49, v183, -v17
	;; [unrolled: 1-line block ×3, first 2 shown]
	v_fmac_f32_e32 v12, v48, v183
	ds_store_2addr_b64 v236, v[22:23], v[4:5] offset0:112 offset1:128
	ds_store_2addr_b64 v236, v[12:13], v[6:7] offset0:176 offset1:192
	;; [unrolled: 1-line block ×3, first 2 shown]
	s_waitcnt vmcnt(5)
	v_mul_f32_e32 v2, v55, v200
	s_waitcnt vmcnt(4)
	v_dual_mul_f32 v3, v54, v200 :: v_dual_mul_f32 v4, v57, v194
	v_mul_f32_e32 v5, v56, v194
	s_waitcnt vmcnt(2)
	v_mul_f32_e32 v6, v59, v210
	s_waitcnt vmcnt(0)
	v_dual_mul_f32 v7, v58, v210 :: v_dual_mul_f32 v12, v61, v212
	v_mul_f32_e32 v13, v60, v212
	v_fmac_f32_e32 v0, v52, v189
	v_fma_f32 v1, v53, v189, -v1
	v_fmac_f32_e32 v2, v54, v199
	v_fma_f32 v3, v55, v199, -v3
	;; [unrolled: 2-line block ×5, first 2 shown]
	ds_store_2addr_b64 v104, v[0:1], v[10:11] offset0:16 offset1:32
	ds_store_2addr_b64 v104, v[24:25], v[2:3] offset0:48 offset1:64
	;; [unrolled: 1-line block ×4, first 2 shown]
	ds_store_b64 v236, v[12:13] offset:3712
	s_waitcnt lgkmcnt(0)
	s_waitcnt_vscnt null, 0x0
	s_barrier
	buffer_gl0_inv
	ds_load_2addr_b64 v[0:3], v236 offset0:80 offset1:96
	ds_load_2addr_b64 v[12:15], v236 offset0:176 offset1:192
	ds_load_b64 v[46:47], v160
	ds_load_2addr_b64 v[16:19], v104 offset0:16 offset1:32
	ds_load_2addr_b64 v[8:11], v104 offset0:112 offset1:128
	;; [unrolled: 1-line block ×12, first 2 shown]
	ds_load_b64 v[44:45], v236 offset:3712
	s_waitcnt lgkmcnt(0)
	s_barrier
	buffer_gl0_inv
	v_add_f32_e32 v122, v39, v51
	v_sub_f32_e32 v125, v51, v55
	v_sub_f32_e32 v87, v52, v56
	v_add_f32_e32 v127, v51, v43
	v_dual_sub_f32 v128, v59, v43 :: v_dual_add_f32 v101, v5, v21
	v_add_f32_e32 v60, v46, v2
	v_sub_f32_e32 v64, v2, v14
	v_add_f32_e32 v66, v2, v10
	v_add_f32_e32 v74, v3, v11
	v_sub_f32_e32 v94, v21, v33
	v_sub_f32_e32 v95, v25, v29
	v_add_f32_e32 v102, v25, v29
	v_sub_f32_e32 v105, v21, v25
	v_add_f32_e32 v107, v21, v33
	v_sub_f32_e32 v21, v25, v21
	v_dual_add_f32 v25, v101, v25 :: v_dual_sub_f32 v112, v51, v43
	v_sub_f32_e32 v51, v55, v51
	v_add_f32_e32 v61, v14, v18
	v_sub_f32_e32 v65, v10, v18
	s_delay_alu instid0(VALU_DEP_4)
	v_add_f32_e32 v25, v25, v29
	v_add_f32_e32 v69, v47, v3
	v_sub_f32_e32 v73, v11, v19
	v_dual_add_f32 v85, v37, v49 :: v_dual_add_f32 v70, v15, v19
	v_dual_sub_f32 v88, v49, v53 :: v_dual_add_f32 v51, v51, v128
	v_dual_sub_f32 v89, v41, v57 :: v_dual_sub_f32 v72, v3, v15
	v_sub_f32_e32 v114, v50, v54
	v_dual_sub_f32 v115, v42, v58 :: v_dual_sub_f32 v62, v3, v11
	v_sub_f32_e32 v63, v15, v19
	v_sub_f32_e32 v67, v14, v2
	;; [unrolled: 1-line block ×5, first 2 shown]
	v_dual_add_f32 v15, v69, v15 :: v_dual_sub_f32 v2, v2, v10
	v_add_f32_e32 v77, v52, v56
	v_sub_f32_e32 v79, v53, v57
	v_sub_f32_e32 v81, v40, v56
	;; [unrolled: 1-line block ×4, first 2 shown]
	v_add_f32_e32 v86, v53, v57
	v_sub_f32_e32 v91, v57, v41
	v_sub_f32_e32 v113, v55, v59
	v_add_f32_e32 v123, v55, v59
	v_dual_add_f32 v55, v122, v55 :: v_dual_add_f32 v14, v60, v14
	v_fma_f32 v129, -0.5, v61, v46
	v_add_f32_e32 v90, v49, v41
	v_add_f32_e32 v60, v64, v65
	;; [unrolled: 1-line block ×3, first 2 shown]
	v_dual_add_f32 v64, v72, v73 :: v_dual_add_f32 v73, v114, v115
	v_sub_f32_e32 v78, v49, v41
	v_dual_sub_f32 v49, v53, v49 :: v_dual_sub_f32 v80, v48, v52
	v_add_f32_e32 v53, v85, v53
	v_fma_f32 v130, -0.5, v70, v47
	v_fmac_f32_e32 v47, -0.5, v74
	s_delay_alu instid0(VALU_DEP_4)
	v_add_f32_e32 v49, v49, v91
	v_dual_sub_f32 v75, v19, v11 :: v_dual_add_f32 v92, v4, v20
	v_add_f32_e32 v15, v15, v19
	v_sub_f32_e32 v103, v24, v28
	v_fma_f32 v46, -0.5, v66, v46
	v_add_f32_e32 v61, v67, v68
	v_fma_f32 v65, -0.5, v77, v36
	v_add_f32_e32 v67, v83, v84
	v_add_f32_e32 v98, v20, v32
	v_fma_f32 v68, -0.5, v86, v37
	v_fmamk_f32 v85, v2, 0xbf737871, v130
	v_dual_fmamk_f32 v19, v78, 0x3f737871, v65 :: v_dual_add_f32 v66, v80, v81
	v_fma_f32 v81, -0.5, v107, v5
	v_fmamk_f32 v86, v71, 0x3f737871, v47
	v_dual_add_f32 v76, v36, v48 :: v_dual_add_f32 v3, v3, v75
	v_add_f32_e32 v93, v24, v28
	v_dual_sub_f32 v96, v20, v24 :: v_dual_fmac_f32 v47, 0xbf737871, v71
	v_sub_f32_e32 v99, v24, v20
	v_dual_sub_f32 v20, v20, v32 :: v_dual_add_f32 v53, v53, v57
	v_add_f32_e32 v109, v38, v50
	v_add_f32_e32 v119, v50, v42
	v_sub_f32_e32 v124, v54, v58
	v_dual_add_f32 v24, v92, v24 :: v_dual_fmac_f32 v47, 0x3f167918, v2
	v_fma_f32 v77, -0.5, v98, v4
	v_fma_f32 v83, -0.5, v102, v5
	v_sub_f32_e32 v120, v54, v50
	v_dual_sub_f32 v50, v50, v42 :: v_dual_fmamk_f32 v89, v103, 0x3f737871, v81
	v_fmac_f32_e32 v81, 0xbf737871, v103
	v_fmac_f32_e32 v86, 0xbf167918, v2
	v_add_f32_e32 v82, v48, v40
	v_fma_f32 v75, -0.5, v93, v4
	v_dual_sub_f32 v108, v29, v33 :: v_dual_sub_f32 v97, v32, v28
	s_delay_alu instid0(VALU_DEP_4)
	v_fmac_f32_e32 v86, 0x3e9e377a, v3
	v_fmamk_f32 v88, v95, 0xbf737871, v77
	v_dual_fmac_f32 v77, 0x3f737871, v95 :: v_dual_add_f32 v24, v24, v28
	v_dual_sub_f32 v100, v28, v32 :: v_dual_fmac_f32 v65, 0xbf737871, v78
	v_fmac_f32_e32 v47, 0x3e9e377a, v3
	v_fmamk_f32 v28, v94, 0x3f737871, v75
	v_fmac_f32_e32 v75, 0xbf737871, v94
	v_dual_add_f32 v110, v54, v58 :: v_dual_add_f32 v5, v21, v108
	v_add_f32_e32 v21, v109, v54
	v_fma_f32 v36, -0.5, v82, v36
	v_dual_fmamk_f32 v82, v62, 0x3f737871, v129 :: v_dual_add_f32 v25, v25, v33
	v_fmac_f32_e32 v129, 0xbf737871, v62
	v_fma_f32 v37, -0.5, v90, v37
	v_dual_fmac_f32 v77, 0xbf167918, v94 :: v_dual_add_f32 v24, v24, v32
	v_sub_f32_e32 v48, v48, v40
	v_sub_f32_e32 v106, v33, v29
	v_dual_sub_f32 v126, v43, v59 :: v_dual_add_f32 v21, v21, v58
	v_fmamk_f32 v57, v87, 0x3f737871, v37
	v_dual_fmac_f32 v37, 0xbf737871, v87 :: v_dual_add_f32 v52, v76, v52
	v_add_f32_e32 v11, v15, v11
	v_fma_f32 v76, -0.5, v123, v39
	v_dual_fmac_f32 v39, -0.5, v127 :: v_dual_add_f32 v80, v125, v126
	s_delay_alu instid0(VALU_DEP_4)
	v_fmac_f32_e32 v37, 0x3f167918, v48
	v_sub_f32_e32 v121, v58, v42
	v_fmamk_f32 v29, v20, 0xbf737871, v83
	v_dual_add_f32 v55, v55, v59 :: v_dual_add_f32 v14, v14, v18
	v_dual_add_f32 v15, v53, v41 :: v_dual_fmac_f32 v130, 0x3f737871, v2
	v_dual_add_f32 v18, v52, v56 :: v_dual_fmac_f32 v75, 0xbf167918, v95
	v_fmac_f32_e32 v37, 0x3e9e377a, v49
	v_fmamk_f32 v52, v79, 0xbf737871, v36
	v_dual_add_f32 v70, v96, v97 :: v_dual_fmac_f32 v19, 0x3f167918, v79
	v_dual_add_f32 v4, v99, v100 :: v_dual_fmamk_f32 v91, v124, 0x3f737871, v39
	v_dual_add_f32 v72, v105, v106 :: v_dual_fmac_f32 v65, 0xbf167918, v79
	v_fma_f32 v54, -0.5, v110, v38
	v_fma_f32 v74, -0.5, v119, v38
	v_dual_add_f32 v38, v120, v121 :: v_dual_fmac_f32 v57, 0xbf167918, v48
	v_dual_fmamk_f32 v56, v48, 0xbf737871, v68 :: v_dual_fmac_f32 v39, 0xbf737871, v124
	v_dual_add_f32 v10, v14, v10 :: v_dual_fmac_f32 v29, 0xbf167918, v103
	v_dual_fmac_f32 v82, 0x3f167918, v63 :: v_dual_fmac_f32 v81, 0x3f167918, v20
	v_dual_add_f32 v14, v18, v40 :: v_dual_fmac_f32 v91, 0xbf167918, v50
	v_dual_fmac_f32 v52, 0x3f167918, v78 :: v_dual_add_f32 v3, v11, v15
	v_dual_fmac_f32 v130, 0x3f167918, v71 :: v_dual_fmac_f32 v39, 0x3f167918, v50
	v_fmac_f32_e32 v83, 0x3f737871, v20
	v_fmac_f32_e32 v129, 0xbf167918, v63
	v_dual_fmac_f32 v85, 0xbf167918, v71 :: v_dual_add_f32 v32, v21, v42
	v_dual_fmac_f32 v82, 0x3e9e377a, v60 :: v_dual_fmac_f32 v19, 0x3e9e377a, v66
	v_dual_fmac_f32 v130, 0x3e9e377a, v64 :: v_dual_fmac_f32 v57, 0x3e9e377a, v49
	;; [unrolled: 1-line block ×3, first 2 shown]
	v_fmamk_f32 v84, v63, 0xbf737871, v46
	v_fmac_f32_e32 v46, 0x3f737871, v63
	v_dual_add_f32 v2, v10, v14 :: v_dual_fmac_f32 v29, 0x3e9e377a, v72
	v_sub_f32_e32 v21, v11, v15
	v_fmac_f32_e32 v56, 0xbf167918, v87
	v_fmac_f32_e32 v83, 0x3f167918, v103
	v_dual_fmac_f32 v89, 0xbf167918, v20 :: v_dual_sub_f32 v20, v10, v14
	v_mul_f32_e32 v11, 0x3f737871, v57
	v_fmac_f32_e32 v46, 0xbf167918, v62
	s_delay_alu instid0(VALU_DEP_4)
	v_dual_fmac_f32 v56, 0x3e9e377a, v69 :: v_dual_fmac_f32 v83, 0x3e9e377a, v72
	v_mul_f32_e32 v14, 0xbf167918, v19
	v_mul_f32_e32 v15, 0xbf737871, v52
	v_fmac_f32_e32 v84, 0x3f167918, v62
	v_fmac_f32_e32 v85, 0x3e9e377a, v64
	v_fmamk_f32 v90, v113, 0xbf737871, v74
	v_fmac_f32_e32 v14, 0x3f4f1bbd, v56
	v_fmac_f32_e32 v68, 0x3f737871, v48
	;; [unrolled: 1-line block ×3, first 2 shown]
	v_fmamk_f32 v59, v50, 0xbf737871, v76
	v_fmac_f32_e32 v90, 0x3f167918, v112
	v_dual_fmac_f32 v46, 0x3e9e377a, v61 :: v_dual_fmac_f32 v65, 0x3e9e377a, v66
	v_fmac_f32_e32 v68, 0x3f167918, v87
	s_delay_alu instid0(VALU_DEP_4) | instskip(SKIP_3) | instid1(VALU_DEP_4)
	v_fmac_f32_e32 v59, 0xbf167918, v124
	v_fmac_f32_e32 v91, 0x3e9e377a, v51
	v_fmac_f32_e32 v74, 0x3f737871, v113
	v_mul_f32_e32 v10, 0x3f4f1bbd, v19
	v_dual_fmac_f32 v68, 0x3e9e377a, v69 :: v_dual_fmac_f32 v59, 0x3e9e377a, v80
	v_dual_mul_f32 v18, 0x3e9e377a, v37 :: v_dual_fmac_f32 v11, 0x3e9e377a, v52
	v_fmac_f32_e32 v129, 0x3e9e377a, v60
	v_fmac_f32_e32 v89, 0x3e9e377a, v5
	v_dual_fmac_f32 v81, 0x3e9e377a, v5 :: v_dual_fmac_f32 v90, 0x3e9e377a, v38
	v_mul_f32_e32 v5, 0x3f4f1bbd, v65
	v_fmac_f32_e32 v10, 0x3f167918, v56
	v_dual_mul_f32 v19, 0x3f4f1bbd, v68 :: v_dual_add_f32 v60, v84, v11
	v_sub_f32_e32 v66, v84, v11
	v_mul_f32_e32 v11, 0x3f737871, v91
	v_fmac_f32_e32 v74, 0xbf167918, v112
	v_fmac_f32_e32 v15, 0x3e9e377a, v57
	;; [unrolled: 1-line block ×6, first 2 shown]
	v_fma_f32 v38, 0xbf167918, v65, -v19
	v_fmac_f32_e32 v36, 0x3f737871, v79
	v_add_f32_e32 v61, v86, v15
	v_sub_f32_e32 v64, v82, v10
	v_or_b32_e32 v110, 48, v159
	v_add_f32_e32 v19, v130, v38
	v_fmac_f32_e32 v36, 0xbf167918, v78
	v_sub_f32_e32 v71, v130, v38
	v_add_co_u32 v108, s0, s8, v116
	v_cmp_gt_u64_e32 vcc_lo, 60, v[110:111]
	s_delay_alu instid0(VALU_DEP_4) | instskip(SKIP_4) | instid1(VALU_DEP_3)
	v_fmac_f32_e32 v36, 0x3e9e377a, v67
	v_sub_f32_e32 v67, v86, v15
	v_dual_add_f32 v15, v55, v43 :: v_dual_fmac_f32 v88, 0x3f167918, v94
	v_fmac_f32_e32 v76, 0x3f737871, v50
	v_add_co_ci_u32_e64 v109, null, s9, 0, s0
                                        ; implicit-def: $vgpr106
	v_fmac_f32_e32 v88, 0x3e9e377a, v4
	v_mul_f32_e32 v4, 0x3e9e377a, v36
	v_fma_f32 v36, 0xbf737871, v36, -v18
	v_fmamk_f32 v58, v112, 0x3f737871, v54
	v_fmac_f32_e32 v54, 0xbf737871, v112
	v_add_f32_e32 v40, v88, v11
	v_fma_f32 v33, 0x3f737871, v37, -v4
	v_dual_add_f32 v63, v47, v36 :: v_dual_fmac_f32 v28, 0x3f167918, v95
	v_fma_f32 v37, 0x3f167918, v68, -v5
	v_dual_sub_f32 v69, v47, v36 :: v_dual_fmac_f32 v58, 0x3f167918, v113
	v_dual_mul_f32 v47, 0xbf737871, v90 :: v_dual_sub_f32 v78, v88, v11
	v_add_f32_e32 v11, v6, v22
	v_fmac_f32_e32 v28, 0x3e9e377a, v70
	s_delay_alu instid0(VALU_DEP_4) | instskip(NEXT) | instid1(VALU_DEP_4)
	v_fmac_f32_e32 v58, 0x3e9e377a, v73
	v_dual_add_f32 v18, v129, v37 :: v_dual_fmac_f32 v47, 0x3e9e377a, v91
	v_fmac_f32_e32 v54, 0xbf167918, v113
	v_dual_sub_f32 v70, v129, v37 :: v_dual_mul_f32 v37, 0x3e9e377a, v39
	s_delay_alu instid0(VALU_DEP_3) | instskip(SKIP_2) | instid1(VALU_DEP_4)
	v_dual_sub_f32 v68, v46, v33 :: v_dual_sub_f32 v79, v89, v47
	v_add_f32_e32 v4, v82, v10
	v_add_f32_e32 v36, v24, v32
	v_fma_f32 v48, 0xbf737871, v74, -v37
	v_dual_fmac_f32 v54, 0x3e9e377a, v73 :: v_dual_add_f32 v37, v25, v15
	v_dual_fmac_f32 v76, 0x3f167918, v124 :: v_dual_add_f32 v11, v11, v26
	s_delay_alu instid0(VALU_DEP_3) | instskip(SKIP_1) | instid1(VALU_DEP_3)
	v_add_f32_e32 v43, v81, v48
	v_sub_f32_e32 v81, v81, v48
	v_dual_add_f32 v41, v89, v47 :: v_dual_fmac_f32 v76, 0x3e9e377a, v80
	v_dual_add_f32 v62, v46, v33 :: v_dual_mul_f32 v33, 0x3f4f1bbd, v54
	v_add_f32_e32 v5, v85, v14
	v_sub_f32_e32 v65, v85, v14
	v_mul_f32_e32 v14, 0x3e9e377a, v74
	v_mul_f32_e32 v46, 0xbf167918, v58
	v_fma_f32 v33, 0x3f167918, v76, -v33
	v_sub_f32_e32 v74, v24, v32
	v_sub_f32_e32 v32, v30, v34
	s_delay_alu instid0(VALU_DEP_4) | instskip(NEXT) | instid1(VALU_DEP_4)
	v_dual_add_f32 v11, v11, v30 :: v_dual_fmac_f32 v46, 0x3f4f1bbd, v59
	v_add_f32_e32 v72, v75, v33
	v_sub_f32_e32 v82, v75, v33
	v_add_f32_e32 v33, v7, v23
	v_fma_f32 v14, 0x3f737871, v39, -v14
	v_mul_f32_e32 v39, 0x3f4f1bbd, v76
	v_sub_f32_e32 v75, v25, v15
	v_sub_f32_e32 v15, v22, v26
	s_delay_alu instid0(VALU_DEP_4) | instskip(NEXT) | instid1(VALU_DEP_4)
	v_add_f32_e32 v42, v77, v14
	v_fma_f32 v49, 0xbf167918, v54, -v39
	v_mul_f32_e32 v10, 0x3f4f1bbd, v58
	v_add_f32_e32 v39, v29, v46
	v_sub_f32_e32 v80, v77, v14
	v_sub_f32_e32 v77, v29, v46
	v_add_f32_e32 v73, v83, v49
	v_dual_sub_f32 v83, v83, v49 :: v_dual_fmac_f32 v10, 0x3f167918, v59
	v_dual_add_f32 v29, v22, v34 :: v_dual_sub_f32 v14, v27, v31
	v_add_f32_e32 v46, v27, v31
	s_delay_alu instid0(VALU_DEP_3) | instskip(SKIP_3) | instid1(VALU_DEP_2)
	v_add_f32_e32 v38, v28, v10
	v_sub_f32_e32 v76, v28, v10
	v_add_f32_e32 v10, v26, v30
	v_sub_f32_e32 v28, v34, v30
	v_fma_f32 v24, -0.5, v10, v6
	v_sub_f32_e32 v10, v23, v35
	v_fma_f32 v6, -0.5, v29, v6
	s_delay_alu instid0(VALU_DEP_4)
	v_add_f32_e32 v15, v15, v28
	v_add_f32_e32 v28, v11, v34
	v_sub_f32_e32 v11, v26, v22
	v_fmamk_f32 v25, v10, 0x3f737871, v24
	v_fmac_f32_e32 v24, 0xbf737871, v10
	v_fmamk_f32 v29, v14, 0xbf737871, v6
	s_delay_alu instid0(VALU_DEP_4) | instskip(NEXT) | instid1(VALU_DEP_4)
	v_dual_fmac_f32 v6, 0x3f737871, v14 :: v_dual_add_f32 v11, v11, v32
	v_fmac_f32_e32 v25, 0x3f167918, v14
	s_delay_alu instid0(VALU_DEP_4) | instskip(NEXT) | instid1(VALU_DEP_4)
	v_fmac_f32_e32 v24, 0xbf167918, v14
	v_dual_add_f32 v14, v33, v27 :: v_dual_fmac_f32 v29, 0x3f167918, v10
	v_fma_f32 v32, -0.5, v46, v7
	v_sub_f32_e32 v22, v22, v34
	v_fmac_f32_e32 v6, 0xbf167918, v10
	s_delay_alu instid0(VALU_DEP_4)
	v_add_f32_e32 v10, v14, v31
	v_add_f32_e32 v14, v23, v35
	v_fmac_f32_e32 v25, 0x3e9e377a, v15
	v_fmac_f32_e32 v24, 0x3e9e377a, v15
	;; [unrolled: 1-line block ×3, first 2 shown]
	v_fmamk_f32 v33, v22, 0xbf737871, v32
	v_dual_sub_f32 v15, v26, v30 :: v_dual_sub_f32 v26, v23, v27
	v_sub_f32_e32 v30, v35, v31
	v_dual_fmac_f32 v6, 0x3e9e377a, v11 :: v_dual_fmac_f32 v7, -0.5, v14
	v_dual_fmac_f32 v32, 0x3f737871, v22 :: v_dual_sub_f32 v11, v27, v23
	v_dual_sub_f32 v14, v31, v35 :: v_dual_add_f32 v23, v0, v12
	v_add_f32_e32 v34, v10, v35
	v_dual_fmac_f32 v33, 0xbf167918, v15 :: v_dual_add_f32 v10, v26, v30
	v_fmamk_f32 v26, v15, 0x3f737871, v7
	s_delay_alu instid0(VALU_DEP_4)
	v_dual_fmac_f32 v32, 0x3f167918, v15 :: v_dual_add_f32 v11, v11, v14
	v_dual_fmac_f32 v7, 0xbf737871, v15 :: v_dual_add_f32 v14, v23, v16
	v_add_f32_e32 v15, v16, v8
	v_fmac_f32_e32 v33, 0x3e9e377a, v10
	v_fmac_f32_e32 v26, 0xbf167918, v22
	;; [unrolled: 1-line block ×3, first 2 shown]
	v_dual_fmac_f32 v7, 0x3f167918, v22 :: v_dual_add_f32 v10, v14, v8
	v_fma_f32 v15, -0.5, v15, v0
	v_add_f32_e32 v14, v12, v44
	v_sub_f32_e32 v22, v13, v45
	v_fmac_f32_e32 v26, 0x3e9e377a, v11
	v_fmac_f32_e32 v7, 0x3e9e377a, v11
	v_dual_add_f32 v23, v10, v44 :: v_dual_sub_f32 v10, v17, v9
	v_fma_f32 v0, -0.5, v14, v0
	v_dual_fmamk_f32 v11, v22, 0x3f737871, v15 :: v_dual_sub_f32 v14, v12, v16
	v_sub_f32_e32 v27, v44, v8
	s_delay_alu instid0(VALU_DEP_3) | instskip(NEXT) | instid1(VALU_DEP_3)
	v_dual_fmac_f32 v15, 0xbf737871, v22 :: v_dual_fmamk_f32 v30, v10, 0xbf737871, v0
	v_fmac_f32_e32 v11, 0x3f167918, v10
	s_delay_alu instid0(VALU_DEP_3) | instskip(NEXT) | instid1(VALU_DEP_3)
	v_dual_sub_f32 v31, v16, v12 :: v_dual_add_f32 v14, v14, v27
	v_fmac_f32_e32 v15, 0xbf167918, v10
	v_dual_sub_f32 v35, v8, v44 :: v_dual_fmac_f32 v0, 0x3f737871, v10
	s_delay_alu instid0(VALU_DEP_3) | instskip(NEXT) | instid1(VALU_DEP_3)
	v_dual_add_f32 v10, v17, v9 :: v_dual_fmac_f32 v11, 0x3e9e377a, v14
	v_dual_fmac_f32 v15, 0x3e9e377a, v14 :: v_dual_add_f32 v14, v13, v45
	s_delay_alu instid0(VALU_DEP_3) | instskip(NEXT) | instid1(VALU_DEP_4)
	v_dual_fmac_f32 v30, 0x3f167918, v22 :: v_dual_add_f32 v27, v31, v35
	v_fmac_f32_e32 v0, 0xbf167918, v22
	v_add_f32_e32 v22, v1, v13
	v_fma_f32 v31, -0.5, v10, v1
	v_dual_sub_f32 v8, v16, v8 :: v_dual_fmac_f32 v1, -0.5, v14
	v_sub_f32_e32 v10, v12, v44
	s_delay_alu instid0(VALU_DEP_4) | instskip(SKIP_1) | instid1(VALU_DEP_4)
	v_add_f32_e32 v12, v22, v17
	v_sub_f32_e32 v14, v13, v17
	v_dual_sub_f32 v13, v17, v13 :: v_dual_fmamk_f32 v22, v8, 0x3f737871, v1
	v_sub_f32_e32 v17, v9, v45
	v_fmac_f32_e32 v1, 0xbf737871, v8
	v_fmac_f32_e32 v30, 0x3e9e377a, v27
	;; [unrolled: 1-line block ×3, first 2 shown]
	v_dual_fmamk_f32 v16, v10, 0xbf737871, v31 :: v_dual_sub_f32 v27, v45, v9
	v_add_f32_e32 v13, v13, v17
	v_fmac_f32_e32 v31, 0x3f737871, v10
	v_fmac_f32_e32 v1, 0x3f167918, v10
	s_delay_alu instid0(VALU_DEP_4) | instskip(SKIP_4) | instid1(VALU_DEP_4)
	v_fmac_f32_e32 v16, 0xbf167918, v8
	v_fmac_f32_e32 v22, 0xbf167918, v10
	v_dual_add_f32 v14, v14, v27 :: v_dual_add_f32 v9, v12, v9
	v_fmac_f32_e32 v31, 0x3f167918, v8
	v_dual_fmac_f32 v1, 0x3e9e377a, v13 :: v_dual_mul_f32 v8, 0x3e9e377a, v0
	v_fmac_f32_e32 v22, 0x3e9e377a, v13
	s_delay_alu instid0(VALU_DEP_4) | instskip(NEXT) | instid1(VALU_DEP_4)
	v_dual_fmac_f32 v16, 0x3e9e377a, v14 :: v_dual_add_f32 v35, v9, v45
	v_fmac_f32_e32 v31, 0x3e9e377a, v14
	s_delay_alu instid0(VALU_DEP_4)
	v_fma_f32 v44, 0x3f737871, v1, -v8
	v_mul_f32_e32 v9, 0x3f4f1bbd, v15
	v_mul_f32_e32 v46, 0xbf167918, v11
	;; [unrolled: 1-line block ×5, first 2 shown]
	v_fma_f32 v45, 0x3f167918, v31, -v9
	v_dual_mul_f32 v9, 0x3f4f1bbd, v31 :: v_dual_fmac_f32 v46, 0x3f4f1bbd, v16
	v_fma_f32 v0, 0xbf737871, v0, -v1
	v_add_f32_e32 v14, v6, v44
	v_sub_f32_e32 v56, v6, v44
	s_delay_alu instid0(VALU_DEP_4)
	v_fma_f32 v1, 0xbf167918, v15, -v9
	v_sub_f32_e32 v53, v33, v46
	v_fmac_f32_e32 v27, 0x3e9e377a, v30
	v_dual_mul_f32 v30, 0xbf737871, v30 :: v_dual_add_f32 v15, v7, v0
	v_mul_u32_u24_e32 v6, 10, v159
	v_sub_f32_e32 v57, v7, v0
	v_mul_u32_u24_e32 v0, 10, v118
	v_fmac_f32_e32 v17, 0x3f167918, v16
	v_dual_fmac_f32 v30, 0x3e9e377a, v22 :: v_dual_add_f32 v49, v32, v1
	v_sub_f32_e32 v59, v32, v1
	v_add_lshl_u32 v246, v162, v6, 3
	v_mul_u32_u24_e32 v1, 10, v117
	v_add_lshl_u32 v245, v162, v0, 3
	v_add_f32_e32 v8, v28, v23
	v_add_f32_e32 v10, v25, v17
	;; [unrolled: 1-line block ×3, first 2 shown]
	v_dual_add_f32 v48, v24, v45 :: v_dual_add_f32 v9, v34, v35
	v_add_f32_e32 v11, v33, v46
	v_dual_add_f32 v13, v26, v30 :: v_dual_sub_f32 v50, v28, v23
	v_sub_f32_e32 v52, v25, v17
	v_sub_f32_e32 v54, v29, v27
	v_dual_sub_f32 v58, v24, v45 :: v_dual_sub_f32 v51, v34, v35
	v_sub_f32_e32 v55, v26, v30
	ds_store_b128 v246, v[2:5]
	ds_store_b128 v246, v[60:63] offset:16
	ds_store_b128 v246, v[18:21] offset:32
	;; [unrolled: 1-line block ×4, first 2 shown]
	v_add_lshl_u32 v241, v162, v1, 3
	ds_store_b128 v245, v[36:39]
	ds_store_b128 v245, v[40:43] offset:16
	ds_store_b128 v245, v[72:75] offset:32
	;; [unrolled: 1-line block ×4, first 2 shown]
	ds_store_b128 v241, v[8:11]
	ds_store_b128 v241, v[12:15] offset:16
	ds_store_b128 v241, v[48:51] offset:32
	;; [unrolled: 1-line block ×4, first 2 shown]
	s_waitcnt lgkmcnt(0)
	s_barrier
	buffer_gl0_inv
	ds_load_2addr_b64 v[76:79], v236 offset0:60 offset1:76
	ds_load_2addr_b64 v[64:67], v236 offset0:92 offset1:120
	;; [unrolled: 1-line block ×9, first 2 shown]
	ds_load_2addr_b64 v[96:99], v104 offset1:16
	ds_load_2addr_b64 v[88:91], v104 offset0:120 offset1:136
	ds_load_b64 v[114:115], v160
	ds_load_b64 v[112:113], v236 offset:3616
	s_and_saveexec_b32 s0, vcc_lo
	s_cbranch_execz .LBB0_3
; %bb.2:
	ds_load_2addr_b64 v[48:51], v236 offset0:48 offset1:108
	ds_load_2addr_b64 v[52:55], v236 offset0:168 offset1:228
	;; [unrolled: 1-line block ×4, first 2 shown]
.LBB0_3:
	s_or_b32 exec_lo, exec_lo, s0
	v_add_nc_u32_e32 v0, -10, v159
	v_cmp_gt_u32_e64 s0, 10, v159
	v_mul_lo_u16 v2, v118, 26
	s_delay_alu instid0(VALU_DEP_2) | instskip(NEXT) | instid1(VALU_DEP_2)
	v_cndmask_b32_e64 v119, v0, v159, s0
	v_lshrrev_b16 v120, 8, v2
	s_delay_alu instid0(VALU_DEP_2) | instskip(SKIP_1) | instid1(VALU_DEP_2)
	v_mul_i32_i24_e32 v0, 56, v119
	v_mul_hi_i32_i24_e32 v1, 56, v119
	v_add_co_u32 v0, s0, s10, v0
	s_delay_alu instid0(VALU_DEP_1)
	v_add_co_ci_u32_e64 v1, s0, s11, v1, s0
	v_cmp_lt_u32_e64 s0, 9, v159
	s_clause 0x3
	global_load_b128 v[12:15], v[0:1], off
	global_load_b128 v[24:27], v[0:1], off offset:16
	global_load_b128 v[16:19], v[0:1], off offset:32
	global_load_b64 v[217:218], v[0:1], off offset:48
	v_mul_lo_u16 v0, v120, 10
	v_mul_lo_u16 v1, v117, 26
	s_delay_alu instid0(VALU_DEP_2) | instskip(NEXT) | instid1(VALU_DEP_2)
	v_sub_nc_u16 v118, v118, v0
	v_lshrrev_b16 v121, 8, v1
	s_delay_alu instid0(VALU_DEP_2) | instskip(NEXT) | instid1(VALU_DEP_2)
	v_and_b32_e32 v2, 0xff, v118
	v_mul_lo_u16 v3, v121, 10
	s_delay_alu instid0(VALU_DEP_2) | instskip(SKIP_1) | instid1(VALU_DEP_3)
	v_mad_u64_u32 v[0:1], null, v2, 56, s[10:11]
	v_mul_lo_u16 v2, v110, 26
	v_sub_nc_u16 v3, v117, v3
	s_delay_alu instid0(VALU_DEP_2) | instskip(NEXT) | instid1(VALU_DEP_2)
	v_lshrrev_b16 v117, 8, v2
	v_and_b32_e32 v122, 0xff, v3
	s_clause 0x2
	global_load_b128 v[44:47], v[0:1], off
	global_load_b128 v[40:43], v[0:1], off offset:16
	global_load_b128 v[36:39], v[0:1], off offset:32
	v_mul_lo_u16 v4, v117, 10
	v_mad_u64_u32 v[2:3], null, v122, 56, s[10:11]
	s_clause 0x1
	global_load_b64 v[219:220], v[0:1], off offset:48
	global_load_b128 v[32:35], v[2:3], off
	v_sub_nc_u16 v4, v110, v4
	global_load_b128 v[28:31], v[2:3], off offset:16
	v_and_b32_e32 v117, 0xffff, v117
	v_and_b32_e32 v0, 0xff, v4
	s_delay_alu instid0(VALU_DEP_1)
	v_mad_u64_u32 v[110:111], null, v0, 56, s[10:11]
	scratch_store_b32 off, v0, off offset:44 ; 4-byte Folded Spill
	s_clause 0x5
	global_load_b128 v[20:23], v[2:3], off offset:32
	global_load_b64 v[215:216], v[2:3], off offset:48
	global_load_b128 v[4:7], v[110:111], off
	global_load_b128 v[0:3], v[110:111], off offset:16
	global_load_b128 v[8:11], v[110:111], off offset:32
	global_load_b64 v[213:214], v[110:111], off offset:48
	v_mul_lo_u16 v110, 0x50, v120
	v_cndmask_b32_e64 v120, 0, 0x50, s0
	v_and_b32_e32 v111, 0xffff, v121
	s_delay_alu instid0(VALU_DEP_3) | instskip(NEXT) | instid1(VALU_DEP_3)
	v_or_b32_e32 v110, v110, v118
	v_or_b32_e32 v118, v119, v120
	s_delay_alu instid0(VALU_DEP_2) | instskip(NEXT) | instid1(VALU_DEP_2)
	v_and_b32_e32 v110, 0xff, v110
	v_add_lshl_u32 v222, v162, v118, 3
	s_waitcnt vmcnt(13) lgkmcnt(8)
	v_dual_mul_f32 v118, v66, v15 :: v_dual_mul_f32 v123, v85, v17
	v_mul_u32_u24_e32 v111, 0x50, v111
	v_mul_f32_e32 v119, v81, v25
	v_add_lshl_u32 v221, v162, v110, 3
	s_waitcnt lgkmcnt(7)
	v_dual_mul_f32 v110, v77, v13 :: v_dual_mul_f32 v125, v75, v19
	v_or_b32_e32 v111, v111, v122
	v_mul_f32_e32 v122, v70, v27
	scratch_store_b32 off, v117, off offset:48 ; 4-byte Folded Spill
	v_dual_mul_f32 v117, v67, v15 :: v_dual_mul_f32 v120, v80, v25
	s_waitcnt vmcnt(12) lgkmcnt(6)
	v_mul_f32_e32 v127, v93, v218
	v_add_lshl_u32 v161, v162, v111, 3
	v_mul_f32_e32 v111, v76, v13
	v_dual_mul_f32 v124, v84, v17 :: v_dual_mul_f32 v121, v71, v27
	v_fmac_f32_e32 v122, v71, v26
	s_delay_alu instid0(VALU_DEP_3) | instskip(NEXT) | instid1(VALU_DEP_3)
	v_dual_mul_f32 v126, v74, v19 :: v_dual_fmac_f32 v111, v77, v12
	v_fmac_f32_e32 v124, v85, v16
	v_fma_f32 v76, v76, v12, -v110
	v_fma_f32 v66, v66, v14, -v117
	v_fma_f32 v70, v70, v26, -v121
	v_fma_f32 v71, v84, v16, -v123
	v_fmac_f32_e32 v118, v67, v14
	v_fma_f32 v67, v80, v24, -v119
	s_waitcnt vmcnt(11)
	v_dual_mul_f32 v85, v79, v45 :: v_dual_mul_f32 v128, v92, v218
	v_fma_f32 v74, v74, v18, -v125
	s_waitcnt lgkmcnt(1)
	v_sub_f32_e32 v77, v115, v122
	s_waitcnt vmcnt(10)
	v_dual_fmac_f32 v126, v75, v18 :: v_dual_mul_f32 v119, v82, v41
	v_fma_f32 v75, v92, v217, -v127
	v_fmac_f32_e32 v120, v81, v24
	v_dual_sub_f32 v81, v111, v124 :: v_dual_fmac_f32 v128, v93, v217
	s_waitcnt vmcnt(8)
	v_dual_mul_f32 v127, v95, v220 :: v_dual_sub_f32 v70, v114, v70
	v_dual_mul_f32 v117, v83, v41 :: v_dual_sub_f32 v74, v66, v74
	v_mul_f32_e32 v121, v97, v43
	v_dual_sub_f32 v71, v76, v71 :: v_dual_sub_f32 v80, v118, v126
	v_mul_f32_e32 v123, v87, v37
	v_dual_sub_f32 v75, v67, v75 :: v_dual_sub_f32 v84, v120, v128
	v_dual_mul_f32 v125, v89, v39 :: v_dual_mul_f32 v92, v78, v45
	s_waitcnt vmcnt(7)
	v_mul_f32_e32 v131, v103, v35
	v_fma_f32 v114, v114, 2.0, -v70
	v_fma_f32 v66, v66, 2.0, -v74
	s_waitcnt vmcnt(3)
	v_mul_f32_e32 v146, v52, v7
	s_waitcnt vmcnt(2)
	v_mul_f32_e32 v148, v54, v1
	v_dual_mul_f32 v150, v56, v3 :: v_dual_fmac_f32 v119, v83, v40
	s_waitcnt vmcnt(0) lgkmcnt(0)
	v_mul_f32_e32 v157, v106, v214
	v_fma_f32 v67, v67, 2.0, -v75
	v_fma_f32 v120, v120, 2.0, -v84
	v_add_f32_e32 v158, v77, v74
	v_add_f32_e32 v75, v81, v75
	v_fmac_f32_e32 v157, v107, v213
	v_fma_f32 v78, v78, v44, -v85
	v_fma_f32 v83, v96, v42, -v121
	v_sub_f32_e32 v74, v71, v84
	v_fma_f32 v84, v86, v36, -v123
	v_dual_mul_f32 v110, v100, v47 :: v_dual_mul_f32 v129, v65, v33
	v_dual_mul_f32 v126, v88, v39 :: v_dual_mul_f32 v137, v73, v21
	v_dual_mul_f32 v130, v64, v33 :: v_dual_mul_f32 v141, v113, v216
	v_dual_mul_f32 v134, v68, v29 :: v_dual_mul_f32 v145, v53, v7
	v_dual_mul_f32 v138, v72, v21 :: v_dual_mul_f32 v149, v57, v3
	v_dual_mul_f32 v142, v112, v216 :: v_dual_mul_f32 v153, v58, v9
	v_sub_f32_e32 v66, v114, v66
	v_sub_f32_e32 v84, v78, v84
	v_fmac_f32_e32 v150, v57, v2
	v_dual_fmamk_f32 v57, v75, 0x3f3504f3, v158 :: v_dual_mul_f32 v122, v96, v43
	v_mul_f32_e32 v133, v69, v29
	v_dual_mul_f32 v124, v86, v37 :: v_dual_mul_f32 v135, v99, v31
	v_dual_mul_f32 v128, v94, v220 :: v_dual_mul_f32 v139, v91, v23
	;; [unrolled: 1-line block ×5, first 2 shown]
	v_dual_mul_f32 v154, v105, v11 :: v_dual_fmac_f32 v153, v59, v8
	v_fma_f32 v115, v115, 2.0, -v77
	v_fma_f32 v118, v118, 2.0, -v80
	;; [unrolled: 1-line block ×4, first 2 shown]
	v_fma_f32 v86, v94, v219, -v127
	v_fma_f32 v64, v64, v32, -v129
	v_fma_f32 v94, v77, 2.0, -v158
	v_fma_f32 v77, v81, 2.0, -v75
	v_sub_f32_e32 v81, v60, v83
	v_dual_fmac_f32 v142, v113, v215 :: v_dual_fmac_f32 v57, 0x3f3504f3, v74
	v_fmac_f32_e32 v138, v73, v20
	v_fma_f32 v73, v112, v215, -v141
	v_fmac_f32_e32 v134, v69, v28
	v_fma_f32 v69, v72, v20, -v137
	v_mul_f32_e32 v93, v101, v47
	v_dual_mul_f32 v132, v102, v35 :: v_dual_mul_f32 v143, v51, v5
	v_mul_f32_e32 v156, v107, v214
	v_fmac_f32_e32 v128, v95, v219
	v_fmac_f32_e32 v130, v65, v32
	v_dual_fmac_f32 v144, v51, v4 :: v_dual_sub_f32 v51, v49, v150
	v_fmac_f32_e32 v136, v99, v30
	v_fmac_f32_e32 v126, v89, v38
	v_fma_f32 v89, v52, v6, -v145
	v_fmac_f32_e32 v148, v55, v0
	v_fmac_f32_e32 v140, v91, v22
	v_sub_f32_e32 v91, v115, v118
	v_dual_sub_f32 v55, v76, v67 :: v_dual_fmac_f32 v146, v53, v6
	v_fma_f32 v53, v104, v10, -v154
	v_dual_sub_f32 v99, v64, v69 :: v_dual_fmac_f32 v122, v97, v42
	v_sub_f32_e32 v95, v119, v128
	v_dual_sub_f32 v80, v70, v80 :: v_dual_fmac_f32 v155, v105, v10
	s_delay_alu instid0(VALU_DEP_3)
	v_dual_fmac_f32 v92, v79, v44 :: v_dual_sub_f32 v83, v61, v122
	v_fma_f32 v79, v100, v46, -v93
	v_fma_f32 v85, v88, v38, -v125
	;; [unrolled: 1-line block ×5, first 2 shown]
	v_dual_sub_f32 v58, v111, v120 :: v_dual_fmamk_f32 v69, v77, 0xbf3504f3, v94
	v_sub_f32_e32 v102, v89, v53
	v_sub_f32_e32 v53, v144, v153
	;; [unrolled: 1-line block ×3, first 2 shown]
	v_fmac_f32_e32 v124, v87, v36
	v_fmac_f32_e32 v110, v101, v46
	v_fma_f32 v87, v68, v28, -v133
	v_fma_f32 v82, v82, v40, -v117
	;; [unrolled: 1-line block ×5, first 2 shown]
	v_fma_f32 v93, v70, 2.0, -v80
	v_fma_f32 v67, v71, 2.0, -v74
	v_sub_f32_e32 v73, v87, v73
	v_fma_f32 v107, v115, 2.0, -v91
	v_fma_f32 v111, v111, 2.0, -v58
	v_sub_f32_e32 v72, v65, v72
	v_dual_sub_f32 v70, v79, v85 :: v_dual_sub_f32 v85, v92, v124
	v_sub_f32_e32 v71, v110, v126
	v_fma_f32 v50, v56, v2, -v149
	v_dual_sub_f32 v101, v134, v142 :: v_dual_sub_f32 v52, v88, v52
	v_fma_f32 v112, v60, 2.0, -v81
	s_delay_alu instid0(VALU_DEP_4)
	v_fma_f32 v110, v110, 2.0, -v71
	v_sub_f32_e32 v115, v81, v71
	v_dual_sub_f32 v105, v148, v157 :: v_dual_sub_f32 v86, v82, v86
	v_fma_f32 v120, v64, 2.0, -v99
	v_fma_f32 v87, v87, 2.0, -v73
	v_dual_sub_f32 v104, v90, v54 :: v_dual_sub_f32 v71, v107, v111
	v_dual_add_f32 v123, v97, v72 :: v_dual_fmamk_f32 v56, v74, 0x3f3504f3, v80
	v_add_f32_e32 v117, v83, v70
	v_fma_f32 v79, v79, 2.0, -v70
	v_sub_f32_e32 v100, v130, v138
	v_fma_f32 v68, v98, v30, -v135
	v_fma_f32 v106, v114, 2.0, -v66
	v_fma_f32 v76, v76, 2.0, -v55
	v_add_f32_e32 v59, v91, v55
	v_dual_fmac_f32 v132, v103, v34 :: v_dual_sub_f32 v103, v146, v155
	v_fma_f32 v92, v92, 2.0, -v85
	v_fma_f32 v122, v134, 2.0, -v101
	v_sub_f32_e32 v101, v99, v101
	v_fma_f32 v114, v78, 2.0, -v84
	v_fma_f32 v78, v82, 2.0, -v86
	;; [unrolled: 1-line block ×3, first 2 shown]
	v_add_f32_e32 v124, v100, v73
	v_sub_f32_e32 v58, v66, v58
	v_fma_f32 v54, v49, 2.0, -v51
	v_fma_f32 v49, v88, 2.0, -v52
	v_fma_f32 v55, v144, 2.0, -v53
	v_sub_f32_e32 v87, v120, v87
	v_fma_f32 v88, v90, 2.0, -v104
	v_fma_f32 v90, v148, 2.0, -v105
	v_fmac_f32_e32 v56, 0xbf3504f3, v75
	s_waitcnt_vscnt null, 0x0
	s_barrier
	buffer_gl0_inv
	v_dual_sub_f32 v98, v132, v140 :: v_dual_fmac_f32 v69, 0x3f3504f3, v67
	v_fma_f32 v113, v61, 2.0, -v83
	v_dual_sub_f32 v95, v84, v95 :: v_dual_add_f32 v64, v53, v104
	v_fma_f32 v73, v91, 2.0, -v59
	v_fma_f32 v75, v158, 2.0, -v57
	v_sub_f32_e32 v91, v112, v79
	v_fmamk_f32 v79, v124, 0x3f3504f3, v123
	ds_store_2addr_b64 v222, v[58:59], v[56:57] offset0:60 offset1:70
	v_dual_sub_f32 v57, v92, v82 :: v_dual_sub_f32 v96, v62, v68
	v_add_f32_e32 v61, v51, v102
	v_fmamk_f32 v68, v67, 0xbf3504f3, v93
	v_fma_f32 v119, v63, 2.0, -v97
	v_fma_f32 v125, v146, 2.0, -v103
	;; [unrolled: 1-line block ×5, first 2 shown]
	v_dual_sub_f32 v63, v52, v105 :: v_dual_add_f32 v86, v85, v86
	v_fmamk_f32 v59, v64, 0x3f3504f3, v61
	v_sub_f32_e32 v50, v48, v50
	v_fma_f32 v89, v89, 2.0, -v102
	v_dual_sub_f32 v70, v106, v76 :: v_dual_fmac_f32 v79, 0x3f3504f3, v101
	v_fma_f32 v72, v66, 2.0, -v58
	v_fma_f32 v104, v83, 2.0, -v117
	v_fma_f32 v84, v84, 2.0, -v95
	v_fma_f32 v85, v85, 2.0, -v86
	v_sub_f32_e32 v66, v54, v125
	v_sub_f32_e32 v102, v113, v110
	v_dual_sub_f32 v110, v119, v65 :: v_dual_sub_f32 v65, v49, v88
	v_fmac_f32_e32 v68, 0xbf3504f3, v77
	v_fmamk_f32 v77, v86, 0x3f3504f3, v117
	v_fma_f32 v48, v48, 2.0, -v50
	v_sub_f32_e32 v67, v55, v90
	v_fma_f32 v74, v80, 2.0, -v56
	v_dual_sub_f32 v56, v114, v78 :: v_dual_fmac_f32 v59, 0x3f3504f3, v63
	v_fma_f32 v121, v130, 2.0, -v100
	v_sub_f32_e32 v98, v96, v98
	v_sub_f32_e32 v105, v118, v62
	v_fma_f32 v126, v97, 2.0, -v123
	v_sub_f32_e32 v60, v50, v103
	v_fma_f32 v103, v81, 2.0, -v115
	v_fma_f32 v97, v99, 2.0, -v101
	v_sub_f32_e32 v62, v48, v89
	v_fma_f32 v80, v106, 2.0, -v70
	v_fma_f32 v81, v107, 2.0, -v71
	;; [unrolled: 1-line block ×3, first 2 shown]
	ds_store_2addr_b64 v222, v[72:73], v[74:75] offset0:20 offset1:30
	ds_store_2addr_b64 v222, v[70:71], v[68:69] offset0:40 offset1:50
	v_fma_f32 v89, v92, 2.0, -v57
	v_dual_fmamk_f32 v69, v85, 0xbf3504f3, v104 :: v_dual_sub_f32 v70, v91, v57
	v_add_f32_e32 v57, v66, v65
	v_add_f32_e32 v71, v102, v56
	v_fma_f32 v99, v100, 2.0, -v124
	v_fma_f32 v111, v96, 2.0, -v98
	;; [unrolled: 1-line block ×3, first 2 shown]
	v_fmamk_f32 v76, v95, 0x3f3504f3, v115
	v_fmac_f32_e32 v69, 0x3f3504f3, v84
	v_dual_fmamk_f32 v73, v99, 0xbf3504f3, v126 :: v_dual_sub_f32 v96, v121, v122
	v_add_f32_e32 v75, v110, v87
	v_fma_f32 v82, v93, 2.0, -v68
	v_fma_f32 v93, v112, 2.0, -v91
	s_delay_alu instid0(VALU_DEP_4)
	v_fmac_f32_e32 v73, 0x3f3504f3, v97
	v_fma_f32 v88, v114, 2.0, -v56
	v_fmamk_f32 v68, v84, 0xbf3504f3, v103
	v_fma_f32 v100, v118, 2.0, -v105
	v_fma_f32 v106, v119, 2.0, -v110
	;; [unrolled: 1-line block ×3, first 2 shown]
	v_fmamk_f32 v78, v101, 0x3f3504f3, v98
	v_fmamk_f32 v72, v97, 0xbf3504f3, v111
	ds_store_2addr_b64 v222, v[80:81], v[82:83] offset1:10
	v_dual_sub_f32 v81, v94, v89 :: v_dual_fmac_f32 v76, 0xbf3504f3, v86
	v_fma_f32 v86, v120, 2.0, -v87
	v_dual_sub_f32 v87, v106, v90 :: v_dual_fmamk_f32 v58, v63, 0x3f3504f3, v60
	v_sub_f32_e32 v80, v93, v88
	v_fmac_f32_e32 v68, 0xbf3504f3, v85
	v_fmac_f32_e32 v77, 0x3f3504f3, v95
	;; [unrolled: 1-line block ×3, first 2 shown]
	v_sub_f32_e32 v86, v100, v86
	v_fmac_f32_e32 v72, 0xbf3504f3, v99
	v_sub_f32_e32 v74, v105, v96
	v_sub_f32_e32 v56, v62, v67
	v_fmac_f32_e32 v58, 0xbf3504f3, v64
	v_fma_f32 v92, v93, 2.0, -v80
	v_fma_f32 v93, v94, 2.0, -v81
	;; [unrolled: 1-line block ×16, first 2 shown]
	scratch_store_b32 off, v222, off offset:60 ; 4-byte Folded Spill
	ds_store_2addr_b64 v221, v[70:71], v[76:77] offset0:60 offset1:70
	ds_store_2addr_b64 v221, v[82:83], v[84:85] offset0:20 offset1:30
	;; [unrolled: 1-line block ×3, first 2 shown]
	scratch_store_b32 off, v221, off offset:56 ; 4-byte Folded Spill
	ds_store_2addr_b64 v221, v[92:93], v[94:95] offset1:10
	ds_store_2addr_b64 v161, v[96:97], v[98:99] offset1:10
	ds_store_2addr_b64 v161, v[88:89], v[90:91] offset0:20 offset1:30
	ds_store_2addr_b64 v161, v[86:87], v[72:73] offset0:40 offset1:50
	scratch_store_b32 off, v161, off offset:52 ; 4-byte Folded Spill
	ds_store_2addr_b64 v161, v[74:75], v[78:79] offset0:60 offset1:70
	s_and_saveexec_b32 s0, vcc_lo
	s_cbranch_execz .LBB0_5
; %bb.4:
	v_fma_f32 v68, v51, 2.0, -v61
	v_fma_f32 v64, v53, 2.0, -v64
	;; [unrolled: 1-line block ×10, first 2 shown]
	v_fmamk_f32 v61, v64, 0xbf3504f3, v68
	scratch_load_b32 v49, off, off offset:48 ; 4-byte Folded Reload
	v_fma_f32 v50, v60, 2.0, -v58
	v_fmamk_f32 v60, v52, 0xbf3504f3, v63
	v_sub_f32_e32 v48, v67, v48
	v_fmac_f32_e32 v61, 0x3f3504f3, v52
	scratch_load_b32 v52, off, off offset:44 ; 4-byte Folded Reload
	s_waitcnt vmcnt(1)
	v_mul_u32_u24_e32 v55, 0x50, v49
	v_dual_sub_f32 v49, v66, v54 :: v_dual_fmac_f32 v60, 0xbf3504f3, v64
	s_waitcnt vmcnt(0)
	s_delay_alu instid0(VALU_DEP_2) | instskip(SKIP_1) | instid1(VALU_DEP_3)
	v_or_b32_e32 v52, v55, v52
	v_fma_f32 v55, v68, 2.0, -v61
	v_fma_f32 v54, v63, 2.0, -v60
	;; [unrolled: 1-line block ×4, first 2 shown]
	v_add_lshl_u32 v65, v162, v52, 3
	v_fma_f32 v52, v62, 2.0, -v56
	ds_store_2addr_b64 v65, v[63:64], v[54:55] offset1:10
	ds_store_2addr_b64 v65, v[52:53], v[50:51] offset0:20 offset1:30
	ds_store_2addr_b64 v65, v[48:49], v[60:61] offset0:40 offset1:50
	;; [unrolled: 1-line block ×3, first 2 shown]
.LBB0_5:
	s_or_b32 exec_lo, exec_lo, s0
	v_mad_u64_u32 v[92:93], null, v159, 40, s[10:11]
	scratch_store_b32 off, v159, off        ; 4-byte Folded Spill
	s_waitcnt lgkmcnt(0)
	s_waitcnt_vscnt null, 0x0
	s_barrier
	buffer_gl0_inv
	s_add_u32 s0, s8, 0xf00
	s_addc_u32 s1, s9, 0
	s_clause 0x2
	global_load_b128 v[52:55], v[92:93], off offset:560
	global_load_b128 v[48:51], v[92:93], off offset:1200
	;; [unrolled: 1-line block ×3, first 2 shown]
	v_add_nc_u32_e32 v110, 0x400, v236
	ds_load_2addr_b64 v[64:67], v236 offset0:80 offset1:96
	ds_load_2addr_b64 v[68:71], v110 offset0:112 offset1:128
	s_clause 0x5
	global_load_b128 v[76:79], v[92:93], off offset:1216
	global_load_b64 v[227:228], v[92:93], off offset:592
	global_load_b64 v[223:224], v[92:93], off offset:1232
	global_load_b128 v[88:91], v[92:93], off offset:1840
	global_load_b128 v[84:87], v[92:93], off offset:1856
	global_load_b64 v[225:226], v[92:93], off offset:1872
	v_add_nc_u32_e32 v247, 0x800, v236
	global_load_b64 v[221:222], v[92:93], off offset:2512
	v_mov_b32_e32 v161, v160
	ds_load_2addr_b64 v[148:151], v247 offset0:48 offset1:64
	s_waitcnt vmcnt(8) lgkmcnt(2)
	v_mul_f32_e32 v73, v67, v49
	s_waitcnt vmcnt(7) lgkmcnt(0)
	v_dual_mul_f32 v74, v69, v61 :: v_dual_mul_f32 v147, v150, v63
	s_delay_alu instid0(VALU_DEP_2) | instskip(NEXT) | instid1(VALU_DEP_2)
	v_fma_f32 v103, v66, v48, -v73
	v_fma_f32 v129, v68, v60, -v74
	s_waitcnt vmcnt(6)
	v_mul_f32_e32 v131, v70, v77
	v_dual_mul_f32 v96, v64, v53 :: v_dual_fmac_f32 v147, v151, v62
	s_delay_alu instid0(VALU_DEP_2) | instskip(NEXT) | instid1(VALU_DEP_2)
	v_fmac_f32_e32 v131, v71, v76
	v_dual_mul_f32 v97, v66, v49 :: v_dual_fmac_f32 v96, v65, v52
	s_delay_alu instid0(VALU_DEP_1) | instskip(NEXT) | instid1(VALU_DEP_1)
	v_dual_mul_f32 v72, v65, v53 :: v_dual_fmac_f32 v97, v67, v48
	v_fma_f32 v102, v64, v52, -v72
	v_mul_f32_e32 v64, v71, v77
	ds_load_2addr_b64 v[72:75], v247 offset0:16 offset1:32
	v_fma_f32 v128, v70, v76, -v64
	ds_load_2addr_b64 v[64:67], v247 offset0:144 offset1:160
	v_mul_f32_e32 v130, v68, v61
	s_waitcnt vmcnt(2) lgkmcnt(0)
	v_dual_mul_f32 v126, v72, v85 :: v_dual_mul_f32 v137, v66, v224
	v_mul_f32_e32 v68, v65, v228
	v_mul_f32_e32 v138, v64, v228
	s_delay_alu instid0(VALU_DEP_3) | instskip(NEXT) | instid1(VALU_DEP_3)
	v_dual_fmac_f32 v130, v69, v60 :: v_dual_fmac_f32 v137, v67, v223
	v_fma_f32 v136, v64, v227, -v68
	v_mul_f32_e32 v64, v67, v224
	s_delay_alu instid0(VALU_DEP_4) | instskip(NEXT) | instid1(VALU_DEP_2)
	v_fmac_f32_e32 v138, v65, v227
	v_fma_f32 v135, v66, v223, -v64
	ds_load_2addr_b64 v[64:67], v236 offset0:176 offset1:192
	s_waitcnt lgkmcnt(0)
	v_mul_f32_e32 v68, v65, v51
	v_mul_f32_e32 v141, v64, v51
	;; [unrolled: 1-line block ×3, first 2 shown]
	s_delay_alu instid0(VALU_DEP_3) | instskip(NEXT) | instid1(VALU_DEP_3)
	v_fma_f32 v140, v64, v50, -v68
	v_dual_mul_f32 v64, v67, v91 :: v_dual_fmac_f32 v141, v65, v50
	s_delay_alu instid0(VALU_DEP_3) | instskip(NEXT) | instid1(VALU_DEP_2)
	v_fmac_f32_e32 v117, v67, v90
	v_fma_f32 v114, v66, v90, -v64
	ds_load_2addr_b64 v[64:67], v247 offset0:80 offset1:96
	s_waitcnt lgkmcnt(0)
	v_mul_f32_e32 v68, v65, v79
	v_mul_f32_e32 v143, v64, v79
	v_mul_f32_e32 v123, v66, v87
	s_delay_alu instid0(VALU_DEP_3) | instskip(NEXT) | instid1(VALU_DEP_3)
	v_fma_f32 v142, v64, v78, -v68
	v_dual_mul_f32 v64, v67, v87 :: v_dual_fmac_f32 v143, v65, v78
	s_delay_alu instid0(VALU_DEP_3) | instskip(NEXT) | instid1(VALU_DEP_2)
	v_fmac_f32_e32 v123, v67, v86
	v_fma_f32 v121, v66, v86, -v64
	ds_load_2addr_b64 v[64:67], v236 offset0:112 offset1:128
	s_waitcnt lgkmcnt(0)
	v_mul_f32_e32 v68, v65, v89
	v_mul_f32_e32 v113, v64, v89
	s_delay_alu instid0(VALU_DEP_2) | instskip(SKIP_4) | instid1(VALU_DEP_2)
	v_fma_f32 v107, v64, v88, -v68
	global_load_b128 v[68:71], v[92:93], off offset:2480
	s_waitcnt vmcnt(0)
	v_dual_fmac_f32 v113, v65, v88 :: v_dual_mul_f32 v64, v67, v69
	v_mul_f32_e32 v101, v66, v69
	v_fma_f32 v100, v66, v68, -v64
	s_delay_alu instid0(VALU_DEP_2) | instskip(NEXT) | instid1(VALU_DEP_1)
	v_dual_mul_f32 v64, v73, v85 :: v_dual_fmac_f32 v101, v67, v68
	v_fma_f32 v125, v72, v84, -v64
	global_load_b128 v[64:67], v[92:93], off offset:2496
	s_waitcnt vmcnt(0)
	v_dual_fmac_f32 v126, v73, v84 :: v_dual_mul_f32 v105, v74, v65
	v_mul_f32_e32 v72, v75, v65
	s_delay_alu instid0(VALU_DEP_2) | instskip(NEXT) | instid1(VALU_DEP_2)
	v_fmac_f32_e32 v105, v75, v64
	v_fma_f32 v111, v74, v64, -v72
	ds_load_2addr_b64 v[72:75], v247 offset0:176 offset1:192
	s_waitcnt lgkmcnt(0)
	v_mul_f32_e32 v80, v73, v226
	s_delay_alu instid0(VALU_DEP_1) | instskip(SKIP_4) | instid1(VALU_DEP_3)
	v_fma_f32 v132, v72, v225, -v80
	ds_load_2addr_b64 v[80:83], v236 offset0:144 offset1:160
	v_mul_f32_e32 v118, v74, v222
	v_mul_f32_e32 v133, v72, v226
	;; [unrolled: 1-line block ×3, first 2 shown]
	v_fmac_f32_e32 v118, v75, v221
	s_delay_alu instid0(VALU_DEP_3) | instskip(NEXT) | instid1(VALU_DEP_3)
	v_fmac_f32_e32 v133, v73, v225
	v_fma_f32 v120, v74, v221, -v72
	s_waitcnt lgkmcnt(0)
	v_mul_f32_e32 v72, v83, v55
	v_mul_f32_e32 v145, v82, v55
	s_delay_alu instid0(VALU_DEP_2) | instskip(SKIP_4) | instid1(VALU_DEP_2)
	v_fma_f32 v144, v82, v54, -v72
	global_load_b128 v[72:75], v[92:93], off offset:3120
	s_waitcnt vmcnt(0)
	v_dual_fmac_f32 v145, v83, v54 :: v_dual_mul_f32 v82, v81, v73
	v_mul_f32_e32 v99, v80, v73
	v_fma_f32 v98, v80, v72, -v82
	s_delay_alu instid0(VALU_DEP_2)
	v_fmac_f32_e32 v99, v81, v72
	ds_load_2addr_b64 v[80:83], v236 offset0:208 offset1:224
	s_waitcnt lgkmcnt(0)
	v_mul_f32_e32 v94, v81, v71
	v_mul_f32_e32 v106, v82, v75
	v_mul_f32_e32 v127, v80, v71
	s_delay_alu instid0(VALU_DEP_3) | instskip(NEXT) | instid1(VALU_DEP_3)
	v_fma_f32 v124, v80, v70, -v94
	v_fmac_f32_e32 v106, v83, v74
	s_delay_alu instid0(VALU_DEP_3) | instskip(NEXT) | instid1(VALU_DEP_1)
	v_dual_mul_f32 v80, v83, v75 :: v_dual_fmac_f32 v127, v81, v70
	v_fma_f32 v104, v82, v74, -v80
	v_mul_f32_e32 v80, v151, v63
	s_delay_alu instid0(VALU_DEP_1) | instskip(SKIP_4) | instid1(VALU_DEP_2)
	v_fma_f32 v146, v150, v62, -v80
	global_load_b128 v[80:83], v[92:93], off offset:3136
	s_waitcnt vmcnt(0)
	v_mul_f32_e32 v94, v149, v81
	v_mul_f32_e32 v112, v148, v81
	v_fma_f32 v115, v148, v80, -v94
	s_delay_alu instid0(VALU_DEP_2) | instskip(SKIP_4) | instid1(VALU_DEP_2)
	v_fmac_f32_e32 v112, v149, v80
	ds_load_2addr_b64 v[148:151], v247 offset0:112 offset1:128
	s_waitcnt lgkmcnt(0)
	v_mul_f32_e32 v139, v148, v67
	v_mul_f32_e32 v94, v149, v67
	v_dual_mul_f32 v122, v150, v83 :: v_dual_fmac_f32 v139, v149, v66
	s_delay_alu instid0(VALU_DEP_2) | instskip(SKIP_1) | instid1(VALU_DEP_3)
	v_fma_f32 v134, v148, v66, -v94
	v_mul_f32_e32 v94, v151, v83
	v_fmac_f32_e32 v122, v151, v82
	v_add_f32_e32 v151, v96, v130
	s_delay_alu instid0(VALU_DEP_3) | instskip(SKIP_2) | instid1(VALU_DEP_1)
	v_fma_f32 v119, v150, v82, -v94
	ds_load_b64 v[94:95], v160
	v_dual_add_f32 v150, v102, v129 :: v_dual_add_f32 v151, v151, v138
	v_add_f32_e32 v150, v150, v136
	s_waitcnt lgkmcnt(0)
	v_dual_add_f32 v148, v94, v144 :: v_dual_add_f32 v149, v95, v145
	s_delay_alu instid0(VALU_DEP_1) | instskip(NEXT) | instid1(VALU_DEP_1)
	v_dual_add_f32 v148, v148, v146 :: v_dual_add_f32 v149, v149, v147
	v_dual_add_f32 v157, v148, v150 :: v_dual_add_f32 v158, v149, v151
	v_dual_sub_f32 v159, v148, v150 :: v_dual_sub_f32 v160, v149, v151
	ds_load_b64 v[231:232], v236 offset:3712
	ds_load_2addr_b64 v[148:151], v236 offset0:16 offset1:32
	ds_load_2addr_b64 v[153:156], v236 offset0:48 offset1:64
	ds_store_b64 v161, v[157:158]
	s_waitcnt lgkmcnt(2)
	v_add_f32_e32 v157, v148, v140
	s_delay_alu instid0(VALU_DEP_1) | instskip(SKIP_1) | instid1(VALU_DEP_1)
	v_add_f32_e32 v229, v157, v142
	v_add_f32_e32 v157, v149, v141
	v_dual_add_f32 v230, v157, v143 :: v_dual_add_f32 v157, v103, v128
	s_delay_alu instid0(VALU_DEP_1) | instskip(SKIP_1) | instid1(VALU_DEP_1)
	v_add_f32_e32 v233, v157, v135
	v_add_f32_e32 v157, v97, v131
	;; [unrolled: 1-line block ×3, first 2 shown]
	s_delay_alu instid0(VALU_DEP_1) | instskip(SKIP_3) | instid1(VALU_DEP_2)
	v_dual_sub_f32 v157, v229, v233 :: v_dual_sub_f32 v158, v230, v234
	ds_store_2addr_b64 v110, v[159:160], v[157:158] offset0:112 offset1:128
	v_add_f32_e32 v159, v150, v114
	v_dual_add_f32 v158, v230, v234 :: v_dual_add_f32 v157, v229, v233
	v_add_f32_e32 v229, v159, v121
	v_add_f32_e32 v159, v151, v117
	s_delay_alu instid0(VALU_DEP_1) | instskip(SKIP_1) | instid1(VALU_DEP_1)
	v_add_f32_e32 v230, v159, v123
	v_add_f32_e32 v159, v107, v125
	;; [unrolled: 1-line block ×4, first 2 shown]
	s_delay_alu instid0(VALU_DEP_1) | instskip(NEXT) | instid1(VALU_DEP_1)
	v_add_f32_e32 v234, v159, v133
	v_dual_add_f32 v160, v230, v234 :: v_dual_add_f32 v159, v229, v233
	ds_store_2addr_b64 v236, v[157:158], v[159:160] offset0:16 offset1:32
	v_sub_f32_e32 v157, v229, v233
	s_waitcnt lgkmcnt(3)
	v_dual_add_f32 v159, v153, v124 :: v_dual_sub_f32 v158, v230, v234
	global_load_b64 v[229:230], v[92:93], off offset:3152
	v_add_f32_e32 v233, v159, v134
	v_add_f32_e32 v159, v154, v127
	s_delay_alu instid0(VALU_DEP_1) | instskip(SKIP_1) | instid1(VALU_DEP_1)
	v_add_f32_e32 v234, v159, v139
	v_add_f32_e32 v159, v100, v111
	;; [unrolled: 1-line block ×4, first 2 shown]
	s_delay_alu instid0(VALU_DEP_1) | instskip(NEXT) | instid1(VALU_DEP_1)
	v_add_f32_e32 v237, v159, v118
	v_dual_sub_f32 v159, v233, v235 :: v_dual_sub_f32 v160, v234, v237
	ds_store_2addr_b64 v247, v[157:158], v[159:160] offset0:16 offset1:32
	s_waitcnt vmcnt(0)
	v_dual_add_f32 v157, v155, v104 :: v_dual_mul_f32 v92, v232, v230
	v_mul_f32_e32 v160, v231, v230
	s_delay_alu instid0(VALU_DEP_2) | instskip(NEXT) | instid1(VALU_DEP_3)
	v_fma_f32 v159, v231, v229, -v92
	v_add_f32_e32 v231, v157, v119
	v_add_f32_e32 v157, v156, v106
	s_delay_alu instid0(VALU_DEP_4) | instskip(SKIP_1) | instid1(VALU_DEP_3)
	v_fmac_f32_e32 v160, v232, v229
	v_dual_add_f32 v92, v233, v235 :: v_dual_add_f32 v93, v234, v237
	v_dual_add_f32 v232, v157, v122 :: v_dual_add_f32 v157, v98, v115
	s_delay_alu instid0(VALU_DEP_1) | instskip(SKIP_1) | instid1(VALU_DEP_1)
	v_add_f32_e32 v233, v157, v159
	v_add_f32_e32 v157, v99, v112
	v_dual_add_f32 v234, v157, v160 :: v_dual_add_f32 v157, v231, v233
	s_delay_alu instid0(VALU_DEP_1)
	v_add_f32_e32 v158, v232, v234
	ds_store_2addr_b64 v236, v[92:93], v[157:158] offset0:48 offset1:64
	v_sub_f32_e32 v157, v145, v147
	v_dual_add_f32 v92, v145, v147 :: v_dual_sub_f32 v145, v130, v138
	v_add_f32_e32 v130, v130, v138
	v_add_f32_e32 v138, v129, v136
	v_sub_f32_e32 v136, v129, v136
	s_delay_alu instid0(VALU_DEP_3) | instskip(NEXT) | instid1(VALU_DEP_3)
	v_dual_fmac_f32 v95, -0.5, v92 :: v_dual_fmac_f32 v96, -0.5, v130
	v_fmac_f32_e32 v102, -0.5, v138
	s_delay_alu instid0(VALU_DEP_2) | instskip(SKIP_1) | instid1(VALU_DEP_2)
	v_fmamk_f32 v92, v136, 0xbf5db3d7, v96
	v_fmac_f32_e32 v96, 0x3f5db3d7, v136
	v_dual_mul_f32 v130, 0x3f5db3d7, v92 :: v_dual_add_f32 v93, v144, v146
	v_sub_f32_e32 v144, v144, v146
	v_sub_f32_e32 v146, v141, v143
	v_add_f32_e32 v129, v141, v143
	v_add_f32_e32 v141, v140, v142
	v_sub_f32_e32 v140, v140, v142
	v_sub_f32_e32 v142, v131, v137
	v_add_f32_e32 v131, v131, v137
	v_add_f32_e32 v137, v128, v135
	v_dual_sub_f32 v135, v128, v135 :: v_dual_fmamk_f32 v128, v145, 0x3f5db3d7, v102
	v_fma_f32 v94, -0.5, v93, v94
	s_delay_alu instid0(VALU_DEP_4) | instskip(NEXT) | instid1(VALU_DEP_4)
	v_fmac_f32_e32 v97, -0.5, v131
	v_fmac_f32_e32 v103, -0.5, v137
	v_fmac_f32_e32 v102, 0xbf5db3d7, v145
	v_fmac_f32_e32 v130, 0.5, v128
	v_mul_f32_e32 v131, 0xbf5db3d7, v128
	v_fma_f32 v143, -0.5, v129, v149
	v_dual_fmamk_f32 v128, v142, 0x3f5db3d7, v103 :: v_dual_fmamk_f32 v147, v157, 0x3f5db3d7, v94
	v_fmac_f32_e32 v103, 0xbf5db3d7, v142
	s_delay_alu instid0(VALU_DEP_4) | instskip(SKIP_1) | instid1(VALU_DEP_4)
	v_dual_fmac_f32 v131, 0.5, v92 :: v_dual_fmac_f32 v94, 0xbf5db3d7, v157
	v_fmamk_f32 v92, v135, 0xbf5db3d7, v97
	v_mul_f32_e32 v138, 0xbf5db3d7, v128
	v_fmamk_f32 v158, v140, 0xbf5db3d7, v143
	v_fma_f32 v141, -0.5, v141, v148
	s_delay_alu instid0(VALU_DEP_4) | instskip(NEXT) | instid1(VALU_DEP_4)
	v_mul_f32_e32 v137, 0x3f5db3d7, v92
	v_fmac_f32_e32 v138, 0.5, v92
	v_add_f32_e32 v92, v147, v130
	v_fmamk_f32 v148, v144, 0xbf5db3d7, v95
	v_fmamk_f32 v149, v146, 0x3f5db3d7, v141
	v_fmac_f32_e32 v137, 0.5, v128
	v_add_f32_e32 v129, v158, v138
	v_fmac_f32_e32 v141, 0xbf5db3d7, v146
	s_delay_alu instid0(VALU_DEP_3) | instskip(SKIP_4) | instid1(VALU_DEP_2)
	v_dual_add_f32 v93, v148, v131 :: v_dual_add_f32 v128, v149, v137
	v_fmac_f32_e32 v97, 0x3f5db3d7, v135
	ds_store_2addr_b64 v236, v[92:93], v[128:129] offset0:80 offset1:96
	v_dual_mul_f32 v129, -0.5, v96 :: v_dual_mul_f32 v128, -0.5, v102
	v_mul_f32_e32 v135, -0.5, v97
	v_dual_fmac_f32 v129, 0xbf5db3d7, v102 :: v_dual_mul_f32 v102, -0.5, v103
	s_delay_alu instid0(VALU_DEP_3) | instskip(NEXT) | instid1(VALU_DEP_2)
	v_fmac_f32_e32 v128, 0x3f5db3d7, v96
	v_dual_fmac_f32 v102, 0x3f5db3d7, v97 :: v_dual_fmac_f32 v95, 0x3f5db3d7, v144
	v_fmac_f32_e32 v143, 0x3f5db3d7, v140
	s_delay_alu instid0(VALU_DEP_3) | instskip(NEXT) | instid1(VALU_DEP_3)
	v_dual_fmac_f32 v135, 0xbf5db3d7, v103 :: v_dual_sub_f32 v92, v94, v128
	v_dual_sub_f32 v96, v141, v102 :: v_dual_sub_f32 v93, v95, v129
	s_delay_alu instid0(VALU_DEP_2)
	v_sub_f32_e32 v97, v143, v135
	ds_store_2addr_b64 v247, v[92:93], v[96:97] offset0:144 offset1:160
	v_sub_f32_e32 v96, v117, v123
	v_add_f32_e32 v92, v141, v102
	v_dual_add_f32 v102, v114, v121 :: v_dual_add_f32 v97, v117, v123
	v_add_f32_e32 v117, v126, v133
	v_sub_f32_e32 v123, v125, v132
	v_add_f32_e32 v93, v143, v135
	s_delay_alu instid0(VALU_DEP_4) | instskip(NEXT) | instid1(VALU_DEP_4)
	v_fma_f32 v102, -0.5, v102, v150
	v_fmac_f32_e32 v113, -0.5, v117
	s_delay_alu instid0(VALU_DEP_2) | instskip(SKIP_3) | instid1(VALU_DEP_2)
	v_fmamk_f32 v117, v96, 0x3f5db3d7, v102
	v_sub_f32_e32 v103, v114, v121
	v_dual_add_f32 v121, v125, v132 :: v_dual_sub_f32 v114, v126, v133
	v_dual_fmac_f32 v151, -0.5, v97 :: v_dual_fmac_f32 v102, 0xbf5db3d7, v96
	v_fmac_f32_e32 v107, -0.5, v121
	s_delay_alu instid0(VALU_DEP_1) | instskip(SKIP_1) | instid1(VALU_DEP_4)
	v_fmamk_f32 v121, v114, 0x3f5db3d7, v107
	v_fmac_f32_e32 v107, 0xbf5db3d7, v114
	v_fmamk_f32 v114, v103, 0xbf5db3d7, v151
	v_fmac_f32_e32 v151, 0x3f5db3d7, v103
	;; [unrolled: 2-line block ×3, first 2 shown]
	v_mul_f32_e32 v123, -0.5, v107
	s_delay_alu instid0(VALU_DEP_1) | instskip(NEXT) | instid1(VALU_DEP_1)
	v_fmac_f32_e32 v123, 0x3f5db3d7, v113
	v_dual_mul_f32 v113, -0.5, v113 :: v_dual_add_f32 v96, v102, v123
	s_delay_alu instid0(VALU_DEP_1) | instskip(SKIP_1) | instid1(VALU_DEP_2)
	v_fmac_f32_e32 v113, 0xbf5db3d7, v107
	v_mul_f32_e32 v107, 0x3f5db3d7, v103
	v_add_f32_e32 v97, v151, v113
	s_delay_alu instid0(VALU_DEP_2)
	v_fmac_f32_e32 v107, 0.5, v121
	v_mul_f32_e32 v121, 0xbf5db3d7, v121
	ds_store_2addr_b64 v236, v[92:93], v[96:97] offset0:176 offset1:192
	v_dual_sub_f32 v92, v149, v137 :: v_dual_fmac_f32 v121, 0.5, v103
	v_dual_sub_f32 v93, v158, v138 :: v_dual_sub_f32 v96, v117, v107
	v_sub_f32_e32 v103, v127, v139
	s_delay_alu instid0(VALU_DEP_3)
	v_sub_f32_e32 v97, v114, v121
	ds_store_2addr_b64 v247, v[92:93], v[96:97] offset0:80 offset1:96
	v_dual_add_f32 v92, v117, v107 :: v_dual_add_f32 v97, v111, v120
	v_sub_f32_e32 v107, v111, v120
	v_add_f32_e32 v111, v105, v118
	v_add_f32_e32 v93, v114, v121
	s_delay_alu instid0(VALU_DEP_4) | instskip(SKIP_1) | instid1(VALU_DEP_4)
	v_dual_sub_f32 v105, v105, v118 :: v_dual_fmac_f32 v100, -0.5, v97
	v_add_f32_e32 v96, v127, v139
	v_fmac_f32_e32 v101, -0.5, v111
	v_add_f32_e32 v111, v124, v134
	s_delay_alu instid0(VALU_DEP_4) | instskip(NEXT) | instid1(VALU_DEP_4)
	v_dual_sub_f32 v114, v124, v134 :: v_dual_fmamk_f32 v117, v105, 0x3f5db3d7, v100
	v_fma_f32 v120, -0.5, v96, v154
	v_fmac_f32_e32 v100, 0xbf5db3d7, v105
	s_delay_alu instid0(VALU_DEP_4) | instskip(NEXT) | instid1(VALU_DEP_3)
	v_fma_f32 v111, -0.5, v111, v153
	v_fmamk_f32 v124, v114, 0xbf5db3d7, v120
	s_delay_alu instid0(VALU_DEP_2) | instskip(SKIP_3) | instid1(VALU_DEP_3)
	v_dual_fmac_f32 v120, 0x3f5db3d7, v114 :: v_dual_fmamk_f32 v121, v103, 0x3f5db3d7, v111
	v_fmamk_f32 v97, v107, 0xbf5db3d7, v101
	v_fmac_f32_e32 v101, 0x3f5db3d7, v107
	v_fmac_f32_e32 v111, 0xbf5db3d7, v103
	v_dual_sub_f32 v103, v104, v119 :: v_dual_mul_f32 v118, 0x3f5db3d7, v97
	s_delay_alu instid0(VALU_DEP_1) | instskip(NEXT) | instid1(VALU_DEP_1)
	v_fmac_f32_e32 v118, 0.5, v117
	v_dual_mul_f32 v117, 0xbf5db3d7, v117 :: v_dual_add_f32 v96, v121, v118
	s_delay_alu instid0(VALU_DEP_1) | instskip(NEXT) | instid1(VALU_DEP_1)
	v_fmac_f32_e32 v117, 0.5, v97
	v_add_f32_e32 v97, v124, v117
	ds_store_2addr_b64 v236, v[92:93], v[96:97] offset0:112 offset1:128
	v_sub_f32_e32 v92, v102, v123
	v_mul_f32_e32 v102, -0.5, v100
	s_delay_alu instid0(VALU_DEP_1) | instskip(NEXT) | instid1(VALU_DEP_1)
	v_fmac_f32_e32 v102, 0x3f5db3d7, v101
	v_dual_mul_f32 v101, -0.5, v101 :: v_dual_sub_f32 v96, v111, v102
	s_delay_alu instid0(VALU_DEP_1) | instskip(SKIP_1) | instid1(VALU_DEP_2)
	v_fmac_f32_e32 v101, 0xbf5db3d7, v100
	v_add_f32_e32 v100, v112, v160
	v_sub_f32_e32 v97, v120, v101
	s_delay_alu instid0(VALU_DEP_2) | instskip(SKIP_1) | instid1(VALU_DEP_2)
	v_dual_fmac_f32 v99, -0.5, v100 :: v_dual_add_f32 v100, v104, v119
	v_dual_sub_f32 v104, v112, v160 :: v_dual_sub_f32 v93, v151, v113
	v_fma_f32 v100, -0.5, v100, v155
	ds_store_2addr_b64 v247, v[92:93], v[96:97] offset0:176 offset1:192
	v_add_f32_e32 v93, v95, v129
	v_dual_add_f32 v95, v115, v159 :: v_dual_add_f32 v92, v94, v128
	v_dual_add_f32 v94, v106, v122 :: v_dual_sub_f32 v97, v115, v159
	v_sub_f32_e32 v96, v106, v122
	s_delay_alu instid0(VALU_DEP_3) | instskip(NEXT) | instid1(VALU_DEP_3)
	v_fmac_f32_e32 v98, -0.5, v95
	v_fmac_f32_e32 v156, -0.5, v94
	s_delay_alu instid0(VALU_DEP_4) | instskip(SKIP_1) | instid1(VALU_DEP_4)
	v_fmamk_f32 v94, v97, 0xbf5db3d7, v99
	v_fmac_f32_e32 v99, 0x3f5db3d7, v97
	v_fmamk_f32 v95, v104, 0x3f5db3d7, v98
	v_fmac_f32_e32 v98, 0xbf5db3d7, v104
	v_fmamk_f32 v107, v96, 0x3f5db3d7, v100
	v_mul_f32_e32 v105, 0x3f5db3d7, v94
	v_fmamk_f32 v112, v103, 0xbf5db3d7, v156
	v_mul_f32_e32 v106, 0xbf5db3d7, v95
	v_fmac_f32_e32 v100, 0xbf5db3d7, v96
	s_delay_alu instid0(VALU_DEP_4) | instskip(NEXT) | instid1(VALU_DEP_3)
	v_dual_mul_f32 v96, -0.5, v98 :: v_dual_fmac_f32 v105, 0.5, v95
	v_dual_mul_f32 v97, -0.5, v99 :: v_dual_fmac_f32 v106, 0.5, v94
	v_fmac_f32_e32 v156, 0x3f5db3d7, v103
	s_delay_alu instid0(VALU_DEP_3) | instskip(NEXT) | instid1(VALU_DEP_3)
	v_fmac_f32_e32 v96, 0x3f5db3d7, v99
	v_dual_add_f32 v94, v107, v105 :: v_dual_fmac_f32 v97, 0xbf5db3d7, v98
	s_delay_alu instid0(VALU_DEP_4)
	v_add_f32_e32 v95, v112, v106
	ds_store_2addr_b64 v236, v[94:95], v[92:93] offset0:144 offset1:160
	v_dual_add_f32 v92, v111, v102 :: v_dual_add_f32 v93, v120, v101
	v_add_f32_e32 v94, v100, v96
	v_add_f32_e32 v95, v156, v97
	ds_store_2addr_b64 v236, v[92:93], v[94:95] offset0:208 offset1:224
	v_dual_sub_f32 v92, v147, v130 :: v_dual_sub_f32 v93, v148, v131
	v_dual_sub_f32 v94, v231, v233 :: v_dual_sub_f32 v95, v232, v234
	ds_store_2addr_b64 v247, v[94:95], v[92:93] offset0:48 offset1:64
	v_dual_sub_f32 v92, v121, v118 :: v_dual_sub_f32 v93, v124, v117
	v_dual_sub_f32 v94, v107, v105 :: v_dual_sub_f32 v95, v112, v106
	ds_store_2addr_b64 v247, v[92:93], v[94:95] offset0:112 offset1:128
	v_sub_f32_e32 v93, v156, v97
	v_sub_f32_e32 v92, v100, v96
	ds_store_b64 v236, v[92:93] offset:3712
	s_waitcnt lgkmcnt(0)
	s_barrier
	buffer_gl0_inv
	global_load_b64 v[92:93], v[108:109], off offset:3840
	ds_load_b64 v[94:95], v161
	s_clause 0xc
	global_load_b64 v[104:105], v116, s[0:1] offset:1920
	global_load_b64 v[127:128], v116, s[0:1] offset:896
	;; [unrolled: 1-line block ×13, first 2 shown]
	s_waitcnt vmcnt(13) lgkmcnt(0)
	v_mul_f32_e32 v96, v95, v93
	v_mul_f32_e32 v97, v94, v93
	s_delay_alu instid0(VALU_DEP_2) | instskip(NEXT) | instid1(VALU_DEP_2)
	v_fma_f32 v96, v94, v92, -v96
	v_fmac_f32_e32 v97, v95, v92
	ds_store_b64 v161, v[96:97]
	global_load_b64 v[96:97], v116, s[0:1] offset:384
	ds_load_2addr_b64 v[92:95], v236 offset0:48 offset1:64
	s_waitcnt vmcnt(0) lgkmcnt(0)
	v_mul_f32_e32 v98, v93, v97
	v_mul_f32_e32 v99, v92, v97
	s_delay_alu instid0(VALU_DEP_2) | instskip(NEXT) | instid1(VALU_DEP_2)
	v_fma_f32 v98, v92, v96, -v98
	v_fmac_f32_e32 v99, v93, v96
	global_load_b64 v[92:93], v116, s[0:1] offset:512
	s_waitcnt vmcnt(0)
	v_mul_f32_e32 v96, v95, v93
	v_mul_f32_e32 v97, v94, v93
	s_delay_alu instid0(VALU_DEP_2) | instskip(NEXT) | instid1(VALU_DEP_2)
	v_fma_f32 v96, v94, v92, -v96
	v_fmac_f32_e32 v97, v95, v92
	ds_load_2addr_b64 v[92:95], v236 offset0:144 offset1:160
	s_waitcnt lgkmcnt(0)
	v_mul_f32_e32 v102, v93, v101
	v_mul_f32_e32 v103, v92, v101
	s_delay_alu instid0(VALU_DEP_2) | instskip(NEXT) | instid1(VALU_DEP_2)
	v_fma_f32 v102, v92, v100, -v102
	v_fmac_f32_e32 v103, v93, v100
	global_load_b64 v[92:93], v116, s[0:1] offset:1280
	s_waitcnt vmcnt(0)
	v_mul_f32_e32 v100, v95, v93
	v_mul_f32_e32 v101, v94, v93
	s_delay_alu instid0(VALU_DEP_2) | instskip(NEXT) | instid1(VALU_DEP_2)
	v_fma_f32 v100, v94, v92, -v100
	v_fmac_f32_e32 v101, v95, v92
	ds_load_2addr_b64 v[92:95], v110 offset0:112 offset1:128
	s_waitcnt lgkmcnt(0)
	;; [unrolled: 14-line block ×13, first 2 shown]
	v_mul_f32_e32 v115, v93, v154
	v_mul_f32_e32 v156, v92, v154
	s_delay_alu instid0(VALU_DEP_2) | instskip(NEXT) | instid1(VALU_DEP_2)
	v_fma_f32 v155, v92, v153, -v115
	v_fmac_f32_e32 v156, v93, v153
	global_load_b64 v[92:93], v116, s[0:1] offset:3328
	s_waitcnt vmcnt(0)
	v_mul_f32_e32 v115, v95, v93
	v_mul_f32_e32 v154, v94, v93
	s_delay_alu instid0(VALU_DEP_2) | instskip(NEXT) | instid1(VALU_DEP_2)
	v_fma_f32 v153, v94, v92, -v115
	v_fmac_f32_e32 v154, v95, v92
	global_load_b64 v[92:93], v116, s[0:1] offset:3712
	ds_load_b64 v[94:95], v236 offset:3712
	s_waitcnt vmcnt(0) lgkmcnt(0)
	v_mul_f32_e32 v115, v95, v93
	v_mul_f32_e32 v116, v94, v93
	s_delay_alu instid0(VALU_DEP_2) | instskip(NEXT) | instid1(VALU_DEP_2)
	v_fma_f32 v115, v94, v92, -v115
	v_fmac_f32_e32 v116, v95, v92
	ds_store_2addr_b64 v236, v[98:99], v[96:97] offset0:48 offset1:64
	ds_store_2addr_b64 v236, v[102:103], v[100:101] offset0:144 offset1:160
	;; [unrolled: 1-line block ×14, first 2 shown]
	ds_store_b64 v236, v[115:116] offset:3712
	s_waitcnt lgkmcnt(0)
	s_barrier
	buffer_gl0_inv
	ds_load_2addr_b64 v[92:95], v236 offset0:80 offset1:96
	ds_load_2addr_b64 v[96:99], v236 offset0:176 offset1:192
	;; [unrolled: 1-line block ×9, first 2 shown]
	ds_load_b64 v[233:234], v161
	s_waitcnt lgkmcnt(8)
	v_sub_f32_e32 v108, v94, v98
	s_waitcnt lgkmcnt(3)
	v_dual_sub_f32 v109, v102, v106 :: v_dual_sub_f32 v240, v137, v129
	s_waitcnt lgkmcnt(2)
	v_dual_add_f32 v116, v99, v107 :: v_dual_sub_f32 v239, v145, v125
	s_waitcnt lgkmcnt(1)
	v_add_f32_e32 v110, v112, v144
	v_add_f32_e32 v248, v108, v109
	v_sub_f32_e32 v108, v95, v99
	v_dual_sub_f32 v109, v103, v107 :: v_dual_sub_f32 v254, v136, v128
	s_delay_alu instid0(VALU_DEP_4)
	v_add_f32_e32 v110, v110, v136
	s_waitcnt lgkmcnt(0)
	v_fma_f32 v242, -0.5, v116, v234
	v_sub_f32_e32 v153, v99, v107
	v_add_f32_e32 v249, v108, v109
	v_sub_f32_e32 v108, v144, v136
	v_sub_f32_e32 v109, v124, v128
	v_add_f32_e32 v110, v110, v128
	v_sub_f32_e32 v157, v94, v102
	v_dual_sub_f32 v155, v98, v106 :: v_dual_sub_f32 v154, v95, v103
	s_delay_alu instid0(VALU_DEP_4) | instskip(SKIP_3) | instid1(VALU_DEP_2)
	v_add_f32_e32 v250, v108, v109
	v_sub_f32_e32 v108, v145, v137
	v_sub_f32_e32 v109, v125, v129
	v_fmamk_f32 v244, v157, 0x3f737871, v242
	v_add_f32_e32 v252, v108, v109
	v_add_f32_e32 v108, v136, v128
	s_delay_alu instid0(VALU_DEP_1) | instskip(NEXT) | instid1(VALU_DEP_1)
	v_fma_f32 v251, -0.5, v108, v112
	v_dual_add_f32 v108, v137, v129 :: v_dual_fmamk_f32 v109, v239, 0xbf737871, v251
	s_delay_alu instid0(VALU_DEP_1) | instskip(SKIP_1) | instid1(VALU_DEP_3)
	v_fma_f32 v253, -0.5, v108, v113
	v_fmac_f32_e32 v251, 0x3f737871, v239
	v_fmac_f32_e32 v109, 0xbf167918, v240
	s_delay_alu instid0(VALU_DEP_1) | instskip(SKIP_1) | instid1(VALU_DEP_2)
	v_fmac_f32_e32 v109, 0x3e9e377a, v250
	v_sub_f32_e32 v255, v144, v124
	v_mul_f32_e32 v235, 0x3f167918, v109
	s_delay_alu instid0(VALU_DEP_2) | instskip(NEXT) | instid1(VALU_DEP_1)
	v_fmamk_f32 v108, v255, 0x3f737871, v253
	v_fmac_f32_e32 v108, 0x3f167918, v254
	s_delay_alu instid0(VALU_DEP_1) | instskip(NEXT) | instid1(VALU_DEP_1)
	v_fmac_f32_e32 v108, 0x3e9e377a, v252
	v_mul_f32_e32 v238, 0xbf167918, v108
	v_dual_fmac_f32 v235, 0x3f4f1bbd, v108 :: v_dual_add_f32 v108, v233, v94
	s_delay_alu instid0(VALU_DEP_2) | instskip(NEXT) | instid1(VALU_DEP_2)
	v_dual_fmac_f32 v238, 0x3f4f1bbd, v109 :: v_dual_add_f32 v109, v98, v106
	v_add_f32_e32 v108, v108, v98
	v_sub_f32_e32 v98, v98, v94
	v_add_f32_e32 v94, v94, v102
	s_delay_alu instid0(VALU_DEP_4) | instskip(NEXT) | instid1(VALU_DEP_4)
	v_fma_f32 v237, -0.5, v109, v233
	v_add_f32_e32 v108, v108, v106
	v_sub_f32_e32 v106, v106, v102
	s_delay_alu instid0(VALU_DEP_4) | instskip(SKIP_1) | instid1(VALU_DEP_4)
	v_fma_f32 v94, -0.5, v94, v233
	v_add_f32_e32 v159, v110, v124
	v_dual_fmamk_f32 v243, v154, 0xbf737871, v237 :: v_dual_add_f32 v156, v108, v102
	s_delay_alu instid0(VALU_DEP_4)
	v_add_f32_e32 v98, v98, v106
	v_add_f32_e32 v106, v95, v103
	v_fmamk_f32 v102, v153, 0x3f737871, v94
	v_dual_add_f32 v111, v113, v145 :: v_dual_fmac_f32 v244, 0x3f167918, v155
	v_fmac_f32_e32 v94, 0xbf737871, v153
	v_dual_add_f32 v148, v156, v159 :: v_dual_fmac_f32 v243, 0xbf167918, v153
	s_delay_alu instid0(VALU_DEP_3) | instskip(NEXT) | instid1(VALU_DEP_4)
	v_add_f32_e32 v111, v111, v137
	v_fmac_f32_e32 v244, 0x3e9e377a, v249
	v_fmac_f32_e32 v102, 0xbf167918, v154
	v_fmac_f32_e32 v94, 0x3f167918, v154
	v_fmac_f32_e32 v237, 0x3f737871, v154
	v_add_f32_e32 v111, v111, v129
	v_add_f32_e32 v109, v234, v95
	;; [unrolled: 1-line block ×3, first 2 shown]
	v_dual_sub_f32 v95, v99, v95 :: v_dual_fmac_f32 v234, -0.5, v106
	s_delay_alu instid0(VALU_DEP_3) | instskip(SKIP_2) | instid1(VALU_DEP_3)
	v_dual_add_f32 v160, v111, v125 :: v_dual_add_f32 v109, v109, v99
	v_sub_f32_e32 v99, v107, v103
	v_dual_fmac_f32 v243, 0x3e9e377a, v248 :: v_dual_fmac_f32 v102, 0x3e9e377a, v98
	v_dual_fmac_f32 v94, 0x3e9e377a, v98 :: v_dual_add_f32 v109, v109, v107
	s_delay_alu instid0(VALU_DEP_3) | instskip(NEXT) | instid1(VALU_DEP_3)
	v_add_f32_e32 v95, v95, v99
	v_dual_add_f32 v150, v243, v238 :: v_dual_sub_f32 v99, v136, v144
	v_fmamk_f32 v98, v155, 0xbf737871, v234
	s_delay_alu instid0(VALU_DEP_4) | instskip(SKIP_2) | instid1(VALU_DEP_3)
	v_dual_add_f32 v158, v109, v103 :: v_dual_sub_f32 v103, v128, v124
	v_fmac_f32_e32 v234, 0x3f737871, v155
	v_sub_f32_e32 v106, v129, v125
	v_dual_fmac_f32 v98, 0x3f167918, v157 :: v_dual_add_f32 v149, v158, v160
	s_delay_alu instid0(VALU_DEP_4) | instskip(SKIP_2) | instid1(VALU_DEP_4)
	v_add_f32_e32 v99, v99, v103
	v_sub_f32_e32 v103, v137, v145
	v_fmac_f32_e32 v234, 0xbf167918, v157
	v_fmac_f32_e32 v98, 0x3e9e377a, v95
	v_dual_fmac_f32 v253, 0xbf737871, v255 :: v_dual_fmac_f32 v242, 0xbf737871, v157
	s_delay_alu instid0(VALU_DEP_3) | instskip(SKIP_1) | instid1(VALU_DEP_3)
	v_dual_add_f32 v103, v103, v106 :: v_dual_fmac_f32 v234, 0x3e9e377a, v95
	v_add_f32_e32 v95, v144, v124
	v_dual_fmac_f32 v253, 0xbf167918, v254 :: v_dual_fmac_f32 v242, 0xbf167918, v155
	v_dual_sub_f32 v136, v126, v130 :: v_dual_fmac_f32 v251, 0x3f167918, v240
	s_delay_alu instid0(VALU_DEP_3) | instskip(NEXT) | instid1(VALU_DEP_3)
	v_fma_f32 v95, -0.5, v95, v112
	v_dual_fmac_f32 v253, 0x3e9e377a, v252 :: v_dual_fmac_f32 v242, 0x3e9e377a, v249
	v_add_f32_e32 v124, v138, v130
	s_delay_alu instid0(VALU_DEP_4) | instskip(NEXT) | instid1(VALU_DEP_4)
	v_fmac_f32_e32 v251, 0x3e9e377a, v250
	v_fmamk_f32 v106, v240, 0x3f737871, v95
	v_fmac_f32_e32 v95, 0xbf737871, v240
	v_fmac_f32_e32 v237, 0x3f167918, v153
	ds_load_b64 v[231:232], v236 offset:3712
	ds_load_2addr_b64 v[108:111], v236 offset0:16 offset1:32
	ds_load_2addr_b64 v[140:143], v236 offset0:112 offset1:128
	;; [unrolled: 1-line block ×5, first 2 shown]
	s_waitcnt lgkmcnt(0)
	v_fmac_f32_e32 v106, 0xbf167918, v239
	v_fmac_f32_e32 v95, 0x3f167918, v239
	;; [unrolled: 1-line block ×3, first 2 shown]
	s_barrier
	buffer_gl0_inv
	v_fmac_f32_e32 v106, 0x3e9e377a, v99
	v_fmac_f32_e32 v95, 0x3e9e377a, v99
	v_add_f32_e32 v99, v145, v125
	ds_store_b128 v246, v[148:151]
	v_mul_f32_e32 v112, 0xbf4f1bbd, v253
	v_sub_f32_e32 v128, v139, v131
	v_sub_f32_e32 v137, v127, v131
	v_fma_f32 v99, -0.5, v99, v113
	v_fma_f32 v145, -0.5, v124, v114
	v_fmac_f32_e32 v112, 0x3f167918, v251
	s_delay_alu instid0(VALU_DEP_3) | instskip(SKIP_1) | instid1(VALU_DEP_2)
	v_fmamk_f32 v107, v254, 0xbf737871, v99
	v_dual_fmac_f32 v99, 0x3f737871, v254 :: v_dual_add_f32 v124, v133, v121
	v_dual_sub_f32 v154, v140, v116 :: v_dual_fmac_f32 v107, 0x3f167918, v255
	s_delay_alu instid0(VALU_DEP_2) | instskip(NEXT) | instid1(VALU_DEP_2)
	v_fmac_f32_e32 v99, 0xbf167918, v255
	v_fmac_f32_e32 v107, 0x3e9e377a, v103
	s_delay_alu instid0(VALU_DEP_2) | instskip(NEXT) | instid1(VALU_DEP_2)
	v_fmac_f32_e32 v99, 0x3e9e377a, v103
	v_mul_f32_e32 v103, 0xbf737871, v107
	v_mul_f32_e32 v107, 0x3e9e377a, v107
	s_delay_alu instid0(VALU_DEP_2) | instskip(NEXT) | instid1(VALU_DEP_2)
	v_fmac_f32_e32 v103, 0x3e9e377a, v106
	v_fmac_f32_e32 v107, 0x3f737871, v106
	v_mul_f32_e32 v106, 0xbf737871, v99
	v_mul_f32_e32 v99, 0xbe9e377a, v99
	s_delay_alu instid0(VALU_DEP_4) | instskip(NEXT) | instid1(VALU_DEP_4)
	v_add_f32_e32 v148, v102, v103
	v_add_f32_e32 v149, v98, v107
	s_delay_alu instid0(VALU_DEP_4) | instskip(NEXT) | instid1(VALU_DEP_4)
	v_fmac_f32_e32 v106, 0xbe9e377a, v95
	v_fmac_f32_e32 v99, 0x3f737871, v95
	s_delay_alu instid0(VALU_DEP_2) | instskip(NEXT) | instid1(VALU_DEP_2)
	v_dual_mul_f32 v95, 0xbf167918, v253 :: v_dual_add_f32 v150, v94, v106
	v_add_f32_e32 v151, v234, v99
	s_delay_alu instid0(VALU_DEP_2)
	v_fmac_f32_e32 v95, 0xbf4f1bbd, v251
	ds_store_b128 v246, v[148:151] offset:16
	v_dual_sub_f32 v150, v156, v159 :: v_dual_sub_f32 v151, v158, v160
	v_dual_add_f32 v148, v237, v95 :: v_dual_add_f32 v149, v242, v112
	ds_store_b128 v246, v[148:151] offset:32
	v_sub_f32_e32 v148, v243, v238
	v_sub_f32_e32 v150, v102, v103
	;; [unrolled: 1-line block ×6, first 2 shown]
	ds_store_b128 v246, v[148:151] offset:48
	v_sub_f32_e32 v148, v94, v106
	v_add_f32_e32 v94, v114, v146
	v_dual_add_f32 v106, v115, v147 :: v_dual_sub_f32 v151, v242, v112
	v_dual_sub_f32 v112, v146, v126 :: v_dual_sub_f32 v107, v147, v139
	s_delay_alu instid0(VALU_DEP_3) | instskip(NEXT) | instid1(VALU_DEP_3)
	v_add_f32_e32 v94, v94, v138
	v_add_f32_e32 v106, v106, v139
	s_delay_alu instid0(VALU_DEP_2) | instskip(SKIP_2) | instid1(VALU_DEP_4)
	v_add_f32_e32 v94, v94, v130
	v_sub_f32_e32 v149, v234, v99
	v_sub_f32_e32 v99, v146, v138
	v_add_f32_e32 v106, v106, v131
	s_delay_alu instid0(VALU_DEP_2) | instskip(SKIP_4) | instid1(VALU_DEP_4)
	v_dual_add_f32 v94, v94, v126 :: v_dual_add_f32 v99, v99, v136
	v_dual_add_f32 v136, v107, v137 :: v_dual_fmamk_f32 v107, v98, 0xbf737871, v145
	v_add_f32_e32 v125, v139, v131
	v_sub_f32_e32 v131, v131, v127
	v_fmac_f32_e32 v145, 0x3f737871, v98
	v_fmac_f32_e32 v107, 0xbf167918, v128
	s_delay_alu instid0(VALU_DEP_4) | instskip(NEXT) | instid1(VALU_DEP_3)
	v_fma_f32 v137, -0.5, v125, v115
	v_fmac_f32_e32 v145, 0x3f167918, v128
	s_delay_alu instid0(VALU_DEP_3)
	v_fmac_f32_e32 v107, 0x3e9e377a, v99
	v_sub_f32_e32 v129, v138, v130
	v_sub_f32_e32 v130, v130, v126
	v_dual_sub_f32 v150, v237, v95 :: v_dual_add_f32 v95, v146, v126
	v_add_f32_e32 v138, v106, v127
	v_sub_f32_e32 v106, v140, v132
	v_dual_sub_f32 v126, v116, v120 :: v_dual_sub_f32 v113, v139, v147
	v_dual_add_f32 v102, v102, v130 :: v_dual_fmac_f32 v145, 0x3e9e377a, v99
	s_delay_alu instid0(VALU_DEP_2)
	v_dual_sub_f32 v130, v231, v100 :: v_dual_add_f32 v139, v106, v126
	v_sub_f32_e32 v106, v141, v133
	v_dual_sub_f32 v126, v117, v121 :: v_dual_add_f32 v103, v147, v127
	v_mul_f32_e32 v147, 0x3f167918, v107
	ds_store_b128 v246, v[148:151] offset:64
	v_fma_f32 v149, -0.5, v124, v109
	v_add_f32_e32 v144, v106, v126
	v_dual_fmamk_f32 v106, v112, 0x3f737871, v137 :: v_dual_sub_f32 v151, v133, v121
	v_sub_f32_e32 v150, v141, v117
	s_delay_alu instid0(VALU_DEP_4) | instskip(NEXT) | instid1(VALU_DEP_3)
	v_fmamk_f32 v156, v154, 0x3f737871, v149
	v_dual_fmac_f32 v115, -0.5, v103 :: v_dual_fmac_f32 v106, 0x3f167918, v129
	v_fma_f32 v95, -0.5, v95, v114
	v_fmac_f32_e32 v137, 0xbf737871, v112
	v_fmac_f32_e32 v149, 0xbf737871, v154
	s_delay_alu instid0(VALU_DEP_4) | instskip(NEXT) | instid1(VALU_DEP_1)
	v_fmac_f32_e32 v106, 0x3e9e377a, v136
	v_mul_f32_e32 v146, 0xbf167918, v106
	v_dual_fmac_f32 v147, 0x3f4f1bbd, v106 :: v_dual_add_f32 v106, v108, v140
	s_delay_alu instid0(VALU_DEP_1) | instskip(NEXT) | instid1(VALU_DEP_3)
	v_add_f32_e32 v106, v106, v132
	v_dual_fmac_f32 v146, 0x3f4f1bbd, v107 :: v_dual_add_f32 v107, v132, v120
	v_sub_f32_e32 v155, v132, v120
	s_delay_alu instid0(VALU_DEP_3) | instskip(NEXT) | instid1(VALU_DEP_3)
	v_dual_fmac_f32 v137, 0xbf167918, v129 :: v_dual_add_f32 v106, v106, v120
	v_fma_f32 v148, -0.5, v107, v108
	s_delay_alu instid0(VALU_DEP_2) | instskip(NEXT) | instid1(VALU_DEP_4)
	v_dual_add_f32 v157, v106, v116 :: v_dual_fmamk_f32 v106, v129, 0xbf737871, v115
	v_dual_add_f32 v107, v109, v141 :: v_dual_fmac_f32 v156, 0x3f167918, v155
	s_delay_alu instid0(VALU_DEP_3) | instskip(SKIP_2) | instid1(VALU_DEP_4)
	v_fmamk_f32 v153, v150, 0xbf737871, v148
	v_fmac_f32_e32 v115, 0x3f737871, v129
	v_add_f32_e32 v103, v113, v131
	v_dual_add_f32 v107, v107, v133 :: v_dual_fmac_f32 v156, 0x3e9e377a, v144
	s_delay_alu instid0(VALU_DEP_4) | instskip(NEXT) | instid1(VALU_DEP_4)
	v_fmac_f32_e32 v153, 0xbf167918, v151
	v_fmac_f32_e32 v115, 0xbf167918, v112
	;; [unrolled: 1-line block ×3, first 2 shown]
	s_delay_alu instid0(VALU_DEP_4) | instskip(NEXT) | instid1(VALU_DEP_4)
	v_dual_fmac_f32 v148, 0x3f737871, v150 :: v_dual_add_f32 v127, v156, v147
	v_fmac_f32_e32 v153, 0x3e9e377a, v139
	v_add_f32_e32 v107, v107, v121
	v_fmac_f32_e32 v115, 0x3e9e377a, v103
	s_delay_alu instid0(VALU_DEP_4) | instskip(NEXT) | instid1(VALU_DEP_4)
	v_fmac_f32_e32 v148, 0x3f167918, v151
	v_dual_fmac_f32 v137, 0x3e9e377a, v136 :: v_dual_add_f32 v126, v153, v146
	s_delay_alu instid0(VALU_DEP_3) | instskip(SKIP_1) | instid1(VALU_DEP_4)
	v_dual_add_f32 v158, v107, v117 :: v_dual_mul_f32 v113, 0xbf737871, v115
	v_dual_mul_f32 v114, 0xbe9e377a, v115 :: v_dual_sub_f32 v107, v132, v140
	v_dual_sub_f32 v115, v120, v116 :: v_dual_fmac_f32 v148, 0x3e9e377a, v139
	v_add_f32_e32 v124, v157, v94
	s_delay_alu instid0(VALU_DEP_2) | instskip(SKIP_1) | instid1(VALU_DEP_2)
	v_dual_add_f32 v112, v134, v122 :: v_dual_add_f32 v107, v107, v115
	v_add_f32_e32 v115, v140, v116
	v_fma_f32 v112, -0.5, v112, v110
	s_delay_alu instid0(VALU_DEP_2) | instskip(SKIP_1) | instid1(VALU_DEP_2)
	v_fma_f32 v115, -0.5, v115, v108
	v_dual_add_f32 v125, v158, v138 :: v_dual_sub_f32 v108, v121, v117
	v_fmamk_f32 v116, v151, 0x3f737871, v115
	v_fmac_f32_e32 v115, 0xbf737871, v151
	s_delay_alu instid0(VALU_DEP_2) | instskip(NEXT) | instid1(VALU_DEP_2)
	v_fmac_f32_e32 v116, 0xbf167918, v150
	v_fmac_f32_e32 v115, 0x3f167918, v150
	s_delay_alu instid0(VALU_DEP_2) | instskip(NEXT) | instid1(VALU_DEP_2)
	v_fmac_f32_e32 v116, 0x3e9e377a, v107
	v_fmac_f32_e32 v115, 0x3e9e377a, v107
	v_sub_f32_e32 v107, v133, v141
	s_delay_alu instid0(VALU_DEP_1) | instskip(NEXT) | instid1(VALU_DEP_1)
	v_dual_add_f32 v107, v107, v108 :: v_dual_add_f32 v108, v141, v117
	v_fma_f32 v117, -0.5, v108, v109
	s_delay_alu instid0(VALU_DEP_1) | instskip(SKIP_3) | instid1(VALU_DEP_4)
	v_fmamk_f32 v120, v155, 0xbf737871, v117
	v_fmac_f32_e32 v106, 0x3e9e377a, v103
	v_fmamk_f32 v103, v128, 0x3f737871, v95
	v_dual_fmac_f32 v95, 0xbf737871, v128 :: v_dual_sub_f32 v128, v105, v97
	v_fmac_f32_e32 v120, 0x3f167918, v154
	s_delay_alu instid0(VALU_DEP_4) | instskip(NEXT) | instid1(VALU_DEP_4)
	v_mul_f32_e32 v121, 0x3e9e377a, v106
	v_fmac_f32_e32 v103, 0xbf167918, v98
	s_delay_alu instid0(VALU_DEP_4) | instskip(SKIP_1) | instid1(VALU_DEP_3)
	v_fmac_f32_e32 v95, 0x3f167918, v98
	v_add_f32_e32 v98, v142, v118
	v_fmac_f32_e32 v103, 0x3e9e377a, v102
	s_delay_alu instid0(VALU_DEP_3) | instskip(SKIP_1) | instid1(VALU_DEP_3)
	v_fmac_f32_e32 v95, 0x3e9e377a, v102
	v_mul_f32_e32 v102, 0xbf737871, v106
	v_fmac_f32_e32 v121, 0x3f737871, v103
	s_delay_alu instid0(VALU_DEP_3) | instskip(SKIP_1) | instid1(VALU_DEP_4)
	v_fmac_f32_e32 v113, 0xbe9e377a, v95
	v_fmac_f32_e32 v117, 0x3f737871, v155
	;; [unrolled: 1-line block ×5, first 2 shown]
	s_delay_alu instid0(VALU_DEP_4) | instskip(NEXT) | instid1(VALU_DEP_4)
	v_dual_add_f32 v108, v115, v113 :: v_dual_fmac_f32 v117, 0xbf167918, v154
	v_dual_add_f32 v106, v116, v102 :: v_dual_mul_f32 v95, 0xbf4f1bbd, v137
	v_add_f32_e32 v103, v111, v143
	s_delay_alu instid0(VALU_DEP_3) | instskip(SKIP_1) | instid1(VALU_DEP_4)
	v_fmac_f32_e32 v117, 0x3e9e377a, v107
	v_add_f32_e32 v107, v120, v121
	v_fmac_f32_e32 v95, 0x3f167918, v145
	s_delay_alu instid0(VALU_DEP_3)
	v_add_f32_e32 v109, v117, v114
	ds_store_b128 v245, v[124:127]
	v_dual_add_f32 v126, v93, v97 :: v_dual_fmac_f32 v149, 0xbf167918, v155
	v_sub_f32_e32 v124, v104, v96
	ds_store_b128 v245, v[106:109] offset:16
	v_sub_f32_e32 v108, v157, v94
	v_mul_f32_e32 v94, 0xbf167918, v137
	v_fmac_f32_e32 v149, 0x3e9e377a, v144
	s_delay_alu instid0(VALU_DEP_2) | instskip(NEXT) | instid1(VALU_DEP_1)
	v_dual_sub_f32 v109, v158, v138 :: v_dual_fmac_f32 v94, 0xbf4f1bbd, v145
	v_dual_add_f32 v107, v149, v95 :: v_dual_add_f32 v106, v148, v94
	ds_store_b128 v245, v[106:109] offset:32
	v_sub_f32_e32 v106, v153, v146
	v_sub_f32_e32 v108, v116, v102
	;; [unrolled: 1-line block ×3, first 2 shown]
	v_dual_sub_f32 v109, v120, v121 :: v_dual_sub_f32 v120, v119, v123
	v_sub_f32_e32 v102, v134, v142
	v_dual_sub_f32 v116, v118, v122 :: v_dual_sub_f32 v121, v123, v119
	ds_store_b128 v245, v[106:109] offset:48
	v_sub_f32_e32 v108, v148, v94
	v_add_f32_e32 v94, v110, v142
	v_dual_sub_f32 v106, v115, v113 :: v_dual_sub_f32 v107, v117, v114
	v_add_f32_e32 v114, v135, v123
	s_delay_alu instid0(VALU_DEP_3) | instskip(NEXT) | instid1(VALU_DEP_2)
	v_add_f32_e32 v94, v94, v134
	v_fma_f32 v114, -0.5, v114, v111
	s_delay_alu instid0(VALU_DEP_2)
	v_dual_add_f32 v94, v94, v122 :: v_dual_sub_f32 v109, v149, v95
	v_sub_f32_e32 v95, v142, v134
	v_sub_f32_e32 v115, v134, v122
	ds_store_b128 v245, v[106:109] offset:64
	v_sub_f32_e32 v108, v143, v135
	v_dual_sub_f32 v99, v143, v119 :: v_dual_sub_f32 v106, v142, v118
	s_delay_alu instid0(VALU_DEP_2) | instskip(NEXT) | instid1(VALU_DEP_2)
	v_dual_add_f32 v107, v143, v119 :: v_dual_add_f32 v108, v108, v120
	v_dual_sub_f32 v127, v96, v231 :: v_dual_fmamk_f32 v134, v99, 0xbf737871, v112
	v_sub_f32_e32 v117, v122, v118
	v_add_f32_e32 v118, v94, v118
	v_dual_add_f32 v94, v92, v96 :: v_dual_sub_f32 v129, v105, v101
	v_dual_sub_f32 v131, v232, v101 :: v_dual_sub_f32 v122, v97, v232
	s_delay_alu instid0(VALU_DEP_2) | instskip(NEXT) | instid1(VALU_DEP_1)
	v_add_f32_e32 v94, v94, v104
	v_add_f32_e32 v94, v94, v100
	s_delay_alu instid0(VALU_DEP_1) | instskip(SKIP_1) | instid1(VALU_DEP_1)
	v_dual_add_f32 v125, v97, v232 :: v_dual_add_f32 v132, v94, v231
	v_sub_f32_e32 v113, v135, v123
	v_dual_sub_f32 v109, v135, v143 :: v_dual_fmac_f32 v134, 0xbf167918, v113
	v_add_f32_e32 v103, v103, v135
	s_delay_alu instid0(VALU_DEP_1) | instskip(SKIP_1) | instid1(VALU_DEP_2)
	v_add_f32_e32 v103, v103, v123
	v_sub_f32_e32 v123, v96, v104
	v_add_f32_e32 v103, v103, v119
	s_delay_alu instid0(VALU_DEP_2) | instskip(SKIP_1) | instid1(VALU_DEP_1)
	v_dual_add_f32 v119, v96, v231 :: v_dual_add_f32 v120, v123, v130
	v_sub_f32_e32 v96, v97, v105
	v_add_f32_e32 v123, v96, v131
	v_dual_add_f32 v97, v126, v105 :: v_dual_add_f32 v126, v104, v100
	v_dual_add_f32 v105, v105, v101 :: v_dual_sub_f32 v104, v104, v100
	v_sub_f32_e32 v100, v100, v231
	v_add_f32_e32 v116, v95, v116
	s_delay_alu instid0(VALU_DEP_4) | instskip(NEXT) | instid1(VALU_DEP_4)
	v_fma_f32 v126, -0.5, v126, v92
	v_fma_f32 v105, -0.5, v105, v93
	v_fmac_f32_e32 v93, -0.5, v125
	v_fma_f32 v92, -0.5, v119, v92
	v_fmac_f32_e32 v134, 0x3e9e377a, v116
	v_fmamk_f32 v95, v122, 0xbf737871, v126
	v_fmamk_f32 v94, v127, 0x3f737871, v105
	v_fmac_f32_e32 v126, 0x3f737871, v122
	v_fmac_f32_e32 v105, 0xbf737871, v127
	s_delay_alu instid0(VALU_DEP_4) | instskip(NEXT) | instid1(VALU_DEP_4)
	v_fmac_f32_e32 v95, 0xbf167918, v129
	v_fmac_f32_e32 v94, 0x3f167918, v104
	s_delay_alu instid0(VALU_DEP_3) | instskip(NEXT) | instid1(VALU_DEP_2)
	v_fmac_f32_e32 v105, 0xbf167918, v104
	v_dual_fmac_f32 v95, 0x3e9e377a, v120 :: v_dual_fmac_f32 v94, 0x3e9e377a, v123
	v_add_f32_e32 v97, v97, v101
	s_delay_alu instid0(VALU_DEP_2) | instskip(NEXT) | instid1(VALU_DEP_2)
	v_mul_f32_e32 v131, 0x3f167918, v95
	v_dual_mul_f32 v130, 0xbf167918, v94 :: v_dual_add_f32 v133, v97, v232
	v_fmac_f32_e32 v112, 0x3f737871, v99
	s_delay_alu instid0(VALU_DEP_3) | instskip(NEXT) | instid1(VALU_DEP_2)
	v_dual_fmac_f32 v131, 0x3f4f1bbd, v94 :: v_dual_add_f32 v94, v118, v132
	v_dual_fmac_f32 v111, -0.5, v107 :: v_dual_fmac_f32 v112, 0x3f167918, v113
	s_delay_alu instid0(VALU_DEP_4) | instskip(SKIP_1) | instid1(VALU_DEP_3)
	v_dual_fmac_f32 v130, 0x3f4f1bbd, v95 :: v_dual_add_f32 v95, v103, v133
	v_sub_f32_e32 v101, v101, v232
	v_fmamk_f32 v107, v115, 0xbf737871, v111
	s_delay_alu instid0(VALU_DEP_4) | instskip(SKIP_3) | instid1(VALU_DEP_3)
	v_fmac_f32_e32 v112, 0x3e9e377a, v116
	v_fmamk_f32 v135, v106, 0x3f737871, v114
	v_dual_add_f32 v96, v134, v130 :: v_dual_fmac_f32 v111, 0x3f737871, v115
	v_fmac_f32_e32 v114, 0xbf737871, v106
	v_fmac_f32_e32 v135, 0x3f167918, v115
	s_delay_alu instid0(VALU_DEP_2) | instskip(NEXT) | instid1(VALU_DEP_2)
	v_dual_fmac_f32 v111, 0xbf167918, v106 :: v_dual_fmac_f32 v114, 0xbf167918, v115
	v_fmac_f32_e32 v135, 0x3e9e377a, v108
	s_delay_alu instid0(VALU_DEP_1) | instskip(SKIP_3) | instid1(VALU_DEP_2)
	v_dual_fmac_f32 v114, 0x3e9e377a, v108 :: v_dual_add_f32 v97, v135, v131
	ds_store_b128 v241, v[94:97]
	v_fmamk_f32 v95, v104, 0xbf737871, v93
	v_dual_fmac_f32 v93, 0x3f737871, v104 :: v_dual_add_f32 v94, v128, v101
	v_dual_sub_f32 v96, v134, v130 :: v_dual_fmac_f32 v95, 0x3f167918, v127
	s_delay_alu instid0(VALU_DEP_2) | instskip(NEXT) | instid1(VALU_DEP_2)
	v_fmac_f32_e32 v93, 0xbf167918, v127
	v_fmac_f32_e32 v95, 0x3e9e377a, v94
	s_delay_alu instid0(VALU_DEP_2) | instskip(NEXT) | instid1(VALU_DEP_1)
	v_fmac_f32_e32 v93, 0x3e9e377a, v94
	v_mul_f32_e32 v97, 0xbf737871, v93
	v_mul_f32_e32 v101, 0xbe9e377a, v93
	v_add_f32_e32 v93, v102, v117
	v_fma_f32 v102, -0.5, v98, v110
	s_delay_alu instid0(VALU_DEP_1) | instskip(SKIP_1) | instid1(VALU_DEP_2)
	v_fmamk_f32 v98, v113, 0x3f737871, v102
	v_fmac_f32_e32 v102, 0xbf737871, v113
	v_fmac_f32_e32 v98, 0xbf167918, v99
	s_delay_alu instid0(VALU_DEP_2) | instskip(SKIP_2) | instid1(VALU_DEP_4)
	v_dual_fmac_f32 v102, 0x3f167918, v99 :: v_dual_fmac_f32 v107, 0x3f167918, v106
	v_fmac_f32_e32 v126, 0x3f167918, v129
	v_fmamk_f32 v94, v129, 0x3f737871, v92
	v_fmac_f32_e32 v98, 0x3e9e377a, v93
	s_delay_alu instid0(VALU_DEP_4)
	v_fmac_f32_e32 v102, 0x3e9e377a, v93
	v_add_f32_e32 v93, v109, v121
	v_fmac_f32_e32 v92, 0xbf737871, v129
	v_fmac_f32_e32 v94, 0xbf167918, v122
	v_mul_f32_e32 v109, 0x3e9e377a, v95
	v_fmac_f32_e32 v105, 0x3e9e377a, v123
	v_fmac_f32_e32 v107, 0x3e9e377a, v93
	;; [unrolled: 1-line block ×3, first 2 shown]
	v_dual_add_f32 v93, v124, v100 :: v_dual_fmac_f32 v92, 0x3f167918, v122
	v_mul_f32_e32 v100, 0xbf737871, v95
	v_fmac_f32_e32 v126, 0x3e9e377a, v120
	s_delay_alu instid0(VALU_DEP_3) | instskip(NEXT) | instid1(VALU_DEP_4)
	v_fmac_f32_e32 v94, 0x3e9e377a, v93
	v_fmac_f32_e32 v92, 0x3e9e377a, v93
	s_delay_alu instid0(VALU_DEP_2) | instskip(SKIP_1) | instid1(VALU_DEP_3)
	v_fmac_f32_e32 v100, 0x3e9e377a, v94
	v_fmac_f32_e32 v109, 0x3f737871, v94
	;; [unrolled: 1-line block ×4, first 2 shown]
	s_delay_alu instid0(VALU_DEP_3) | instskip(NEXT) | instid1(VALU_DEP_3)
	v_dual_add_f32 v92, v98, v100 :: v_dual_add_f32 v93, v107, v109
	v_add_f32_e32 v94, v102, v97
	s_delay_alu instid0(VALU_DEP_3)
	v_dual_add_f32 v95, v111, v101 :: v_dual_sub_f32 v98, v98, v100
	v_dual_sub_f32 v100, v102, v97 :: v_dual_sub_f32 v97, v135, v131
	v_sub_f32_e32 v99, v107, v109
	ds_store_b128 v241, v[92:95] offset:16
	v_mul_f32_e32 v93, 0xbf167918, v105
	v_sub_f32_e32 v95, v103, v133
	v_dual_mul_f32 v103, 0xbf4f1bbd, v105 :: v_dual_sub_f32 v94, v118, v132
	v_sub_f32_e32 v101, v111, v101
	s_delay_alu instid0(VALU_DEP_4) | instskip(NEXT) | instid1(VALU_DEP_1)
	v_fmac_f32_e32 v93, 0xbf4f1bbd, v126
	v_dual_fmac_f32 v103, 0x3f167918, v126 :: v_dual_add_f32 v92, v112, v93
	s_delay_alu instid0(VALU_DEP_1)
	v_dual_sub_f32 v102, v112, v93 :: v_dual_add_f32 v93, v114, v103
	v_sub_f32_e32 v103, v114, v103
	ds_store_b128 v241, v[92:95] offset:32
	ds_store_b128 v241, v[96:99] offset:48
	;; [unrolled: 1-line block ×3, first 2 shown]
	s_waitcnt lgkmcnt(0)
	s_barrier
	buffer_gl0_inv
	ds_load_b64 v[150:151], v161
	ds_load_b64 v[148:149], v236 offset:3616
	ds_load_2addr_b64 v[144:147], v236 offset0:60 offset1:76
	ds_load_2addr_b64 v[124:127], v236 offset0:92 offset1:120
	;; [unrolled: 1-line block ×9, first 2 shown]
	ds_load_2addr_b64 v[120:123], v247 offset1:16
	ds_load_2addr_b64 v[108:111], v247 offset0:120 offset1:136
	s_and_saveexec_b32 s0, vcc_lo
	s_cbranch_execz .LBB0_7
; %bb.6:
	ds_load_2addr_b64 v[92:95], v236 offset0:48 offset1:108
	ds_load_2addr_b64 v[96:99], v236 offset0:168 offset1:228
	;; [unrolled: 1-line block ×4, first 2 shown]
.LBB0_7:
	s_or_b32 exec_lo, exec_lo, s0
	s_waitcnt lgkmcnt(9)
	v_dual_mul_f32 v153, v13, v145 :: v_dual_mul_f32 v154, v15, v127
	v_mul_f32_e32 v13, v13, v144
	v_mul_f32_e32 v15, v15, v126
	s_waitcnt lgkmcnt(0)
	s_delay_alu instid0(VALU_DEP_3) | instskip(NEXT) | instid1(VALU_DEP_3)
	v_dual_fmac_f32 v153, v12, v144 :: v_dual_fmac_f32 v154, v14, v126
	v_fma_f32 v12, v12, v145, -v13
	v_mul_f32_e32 v13, v25, v141
	v_mul_f32_e32 v25, v25, v140
	v_fma_f32 v14, v14, v127, -v15
	v_mul_f32_e32 v15, v27, v119
	s_barrier
	v_fmac_f32_e32 v13, v24, v140
	v_fma_f32 v24, v24, v141, -v25
	v_mul_f32_e32 v25, v27, v118
	v_dual_fmac_f32 v15, v26, v118 :: v_dual_mul_f32 v118, v19, v115
	v_mul_f32_e32 v19, v19, v114
	v_mul_f32_e32 v27, v17, v137
	buffer_gl0_inv
	v_fmac_f32_e32 v118, v18, v114
	v_fma_f32 v18, v18, v115, -v19
	v_mul_f32_e32 v114, v45, v147
	v_mul_f32_e32 v19, v45, v146
	;; [unrolled: 1-line block ×3, first 2 shown]
	s_delay_alu instid0(VALU_DEP_4) | instskip(NEXT) | instid1(VALU_DEP_4)
	v_dual_mul_f32 v115, v43, v121 :: v_dual_sub_f32 v18, v14, v18
	v_fmac_f32_e32 v114, v44, v146
	s_delay_alu instid0(VALU_DEP_4) | instskip(SKIP_4) | instid1(VALU_DEP_4)
	v_fma_f32 v44, v44, v147, -v19
	v_mul_f32_e32 v19, v47, v128
	v_fmac_f32_e32 v45, v46, v128
	v_fmac_f32_e32 v115, v42, v120
	v_fma_f32 v14, v14, 2.0, -v18
	v_fma_f32 v46, v46, v129, -v19
	v_mul_f32_e32 v19, v43, v120
	v_mul_f32_e32 v43, v39, v109
	v_mul_f32_e32 v120, v29, v117
	v_mul_f32_e32 v29, v29, v116
	v_sub_f32_e32 v15, v150, v15
	v_fma_f32 v42, v42, v121, -v19
	v_mul_f32_e32 v19, v39, v108
	v_dual_fmac_f32 v43, v38, v108 :: v_dual_mul_f32 v108, v33, v125
	v_mul_f32_e32 v33, v33, v124
	v_fmac_f32_e32 v120, v28, v116
	s_delay_alu instid0(VALU_DEP_4)
	v_fma_f32 v38, v38, v109, -v19
	v_mul_f32_e32 v19, v220, v134
	v_fmac_f32_e32 v108, v32, v124
	v_mul_f32_e32 v124, v31, v123
	v_fma_f32 v116, v28, v117, -v29
	v_mul_f32_e32 v117, v21, v113
	v_fma_f32 v39, v219, v135, -v19
	v_mul_f32_e32 v19, v35, v130
	v_dual_mul_f32 v17, v17, v136 :: v_dual_fmac_f32 v124, v30, v122
	s_delay_alu instid0(VALU_DEP_4) | instskip(SKIP_1) | instid1(VALU_DEP_4)
	v_fmac_f32_e32 v117, v20, v112
	v_fma_f32 v25, v26, v119, -v25
	v_fma_f32 v121, v34, v131, -v19
	v_mul_f32_e32 v19, v31, v122
	v_fmac_f32_e32 v27, v16, v136
	v_fma_f32 v16, v16, v137, -v17
	v_dual_mul_f32 v26, v218, v132 :: v_dual_mul_f32 v47, v41, v143
	s_delay_alu instid0(VALU_DEP_4) | instskip(SKIP_4) | instid1(VALU_DEP_4)
	v_fma_f32 v122, v30, v123, -v19
	v_dual_mul_f32 v19, v21, v112 :: v_dual_mul_f32 v112, v216, v149
	v_mul_f32_e32 v17, v218, v133
	v_mul_f32_e32 v123, v23, v111
	v_fma_f32 v26, v217, v133, -v26
	v_fma_f32 v113, v20, v113, -v19
	v_fmac_f32_e32 v112, v215, v148
	v_fmac_f32_e32 v17, v217, v132
	;; [unrolled: 1-line block ×3, first 2 shown]
	v_dual_sub_f32 v19, v151, v25 :: v_dual_sub_f32 v20, v154, v118
	s_delay_alu instid0(VALU_DEP_4) | instskip(SKIP_1) | instid1(VALU_DEP_3)
	v_dual_sub_f32 v112, v120, v112 :: v_dual_mul_f32 v21, v23, v110
	v_sub_f32_e32 v16, v12, v16
	v_fma_f32 v23, v151, 2.0, -v19
	s_delay_alu instid0(VALU_DEP_4)
	v_fma_f32 v25, v154, 2.0, -v20
	v_sub_f32_e32 v17, v13, v17
	v_fma_f32 v110, v22, v111, -v21
	v_fma_f32 v21, v150, 2.0, -v15
	v_sub_f32_e32 v22, v153, v27
	v_sub_f32_e32 v26, v24, v26
	v_fma_f32 v12, v12, 2.0, -v16
	s_delay_alu instid0(VALU_DEP_4) | instskip(NEXT) | instid1(VALU_DEP_4)
	v_dual_sub_f32 v28, v23, v14 :: v_dual_sub_f32 v25, v21, v25
	v_fma_f32 v27, v153, 2.0, -v22
	v_fma_f32 v13, v13, 2.0, -v17
	;; [unrolled: 1-line block ×3, first 2 shown]
	v_add_f32_e32 v29, v15, v18
	v_add_f32_e32 v26, v22, v26
	v_mul_f32_e32 v41, v41, v142
	v_fma_f32 v119, v32, v125, -v33
	v_sub_f32_e32 v32, v19, v20
	v_fma_f32 v18, v21, 2.0, -v25
	v_fma_f32 v21, v23, 2.0, -v28
	;; [unrolled: 1-line block ×3, first 2 shown]
	v_sub_f32_e32 v23, v27, v13
	v_sub_f32_e32 v30, v16, v17
	;; [unrolled: 1-line block ×3, first 2 shown]
	v_fma_f32 v17, v22, 2.0, -v26
	v_fmac_f32_e32 v47, v40, v142
	v_fma_f32 v19, v19, 2.0, -v32
	v_fma_f32 v13, v27, 2.0, -v23
	;; [unrolled: 1-line block ×4, first 2 shown]
	v_fmamk_f32 v12, v17, 0xbf3504f3, v20
	v_fma_f32 v40, v40, v143, -v41
	v_dual_mul_f32 v41, v37, v139 :: v_dual_mul_f32 v22, v216, v148
	v_dual_mul_f32 v37, v37, v138 :: v_dual_sub_f32 v14, v18, v13
	v_fmamk_f32 v13, v16, 0xbf3504f3, v19
	v_dual_sub_f32 v15, v21, v15 :: v_dual_fmac_f32 v12, 0x3f3504f3, v16
	s_delay_alu instid0(VALU_DEP_4) | instskip(NEXT) | instid1(VALU_DEP_4)
	v_fmac_f32_e32 v41, v36, v138
	v_fma_f32 v36, v36, v139, -v37
	v_fma_f32 v111, v215, v149, -v22
	v_fma_f32 v16, v18, 2.0, -v14
	v_fmac_f32_e32 v13, 0xbf3504f3, v17
	v_fma_f32 v17, v21, 2.0, -v15
	v_fma_f32 v18, v20, 2.0, -v12
	v_dual_add_f32 v20, v25, v24 :: v_dual_sub_f32 v21, v28, v23
	v_dual_fmamk_f32 v22, v26, 0x3f3504f3, v29 :: v_dual_mul_f32 v37, v220, v135
	v_fmamk_f32 v23, v30, 0x3f3504f3, v32
	s_delay_alu instid0(VALU_DEP_3) | instskip(NEXT) | instid1(VALU_DEP_4)
	v_fma_f32 v24, v25, 2.0, -v20
	v_fma_f32 v25, v28, 2.0, -v21
	s_delay_alu instid0(VALU_DEP_4)
	v_fmac_f32_e32 v22, 0x3f3504f3, v30
	v_dual_fmac_f32 v37, v219, v134 :: v_dual_sub_f32 v36, v44, v36
	v_sub_f32_e32 v27, v104, v115
	v_fmac_f32_e32 v23, 0xbf3504f3, v26
	v_sub_f32_e32 v26, v105, v42
	v_sub_f32_e32 v28, v45, v43
	v_mul_f32_e32 v109, v35, v131
	v_fma_f32 v30, v104, 2.0, -v27
	v_sub_f32_e32 v37, v47, v37
	v_sub_f32_e32 v31, v46, v38
	;; [unrolled: 1-line block ×3, first 2 shown]
	v_fma_f32 v35, v45, 2.0, -v28
	v_sub_f32_e32 v33, v114, v41
	v_sub_f32_e32 v39, v40, v39
	v_fma_f32 v38, v46, 2.0, -v31
	v_fma_f32 v42, v44, 2.0, -v36
	v_sub_f32_e32 v43, v30, v35
	v_fma_f32 v35, v47, 2.0, -v37
	v_sub_f32_e32 v47, v36, v37
	v_fma_f32 v41, v114, 2.0, -v33
	v_add_f32_e32 v45, v27, v31
	v_add_f32_e32 v46, v33, v39
	v_fma_f32 v28, v29, 2.0, -v22
	v_fma_f32 v36, v36, 2.0, -v47
	v_fmac_f32_e32 v109, v34, v130
	v_fma_f32 v34, v105, 2.0, -v26
	v_sub_f32_e32 v37, v41, v35
	v_fma_f32 v33, v33, 2.0, -v46
	v_fma_f32 v29, v32, 2.0, -v23
	s_delay_alu instid0(VALU_DEP_4)
	v_dual_sub_f32 v111, v116, v111 :: v_dual_sub_f32 v44, v34, v38
	v_fma_f32 v38, v40, 2.0, -v39
	v_fma_f32 v39, v27, 2.0, -v45
	;; [unrolled: 1-line block ×5, first 2 shown]
	v_sub_f32_e32 v35, v42, v38
	v_fma_f32 v38, v26, 2.0, -v104
	v_dual_fmamk_f32 v26, v33, 0xbf3504f3, v39 :: v_dual_sub_f32 v37, v44, v37
	v_sub_f32_e32 v30, v40, v30
	s_delay_alu instid0(VALU_DEP_4) | instskip(NEXT) | instid1(VALU_DEP_4)
	v_fma_f32 v31, v42, 2.0, -v35
	v_fmamk_f32 v27, v36, 0xbf3504f3, v38
	s_delay_alu instid0(VALU_DEP_4)
	v_fmac_f32_e32 v26, 0x3f3504f3, v36
	v_add_f32_e32 v36, v43, v35
	v_sub_f32_e32 v42, v106, v124
	v_sub_f32_e32 v31, v34, v31
	v_fmac_f32_e32 v27, 0xbf3504f3, v33
	v_fma_f32 v41, v44, 2.0, -v37
	v_fma_f32 v32, v40, 2.0, -v30
	;; [unrolled: 1-line block ×5, first 2 shown]
	v_fmamk_f32 v39, v47, 0x3f3504f3, v104
	v_fma_f32 v35, v38, 2.0, -v27
	v_fmamk_f32 v38, v46, 0x3f3504f3, v45
	v_fma_f32 v40, v43, 2.0, -v36
	v_sub_f32_e32 v43, v107, v122
	v_dual_fmac_f32 v39, 0xbf3504f3, v46 :: v_dual_sub_f32 v46, v109, v123
	s_delay_alu instid0(VALU_DEP_4) | instskip(SKIP_1) | instid1(VALU_DEP_4)
	v_dual_fmac_f32 v38, 0x3f3504f3, v47 :: v_dual_sub_f32 v105, v108, v117
	v_sub_f32_e32 v47, v121, v110
	v_fma_f32 v106, v107, 2.0, -v43
	s_delay_alu instid0(VALU_DEP_4) | instskip(SKIP_3) | instid1(VALU_DEP_4)
	v_fma_f32 v109, v109, 2.0, -v46
	v_sub_f32_e32 v107, v119, v113
	v_fma_f32 v108, v108, 2.0, -v105
	v_fma_f32 v110, v121, 2.0, -v47
	v_dual_add_f32 v117, v42, v47 :: v_dual_sub_f32 v114, v44, v109
	v_fma_f32 v109, v120, 2.0, -v112
	v_fma_f32 v47, v116, 2.0, -v111
	v_sub_f32_e32 v116, v43, v46
	v_fma_f32 v113, v119, 2.0, -v107
	v_sub_f32_e32 v115, v106, v110
	v_sub_f32_e32 v109, v108, v109
	v_fma_f32 v110, v44, 2.0, -v114
	v_dual_add_f32 v119, v105, v111 :: v_dual_sub_f32 v112, v107, v112
	v_fma_f32 v120, v43, 2.0, -v116
	s_delay_alu instid0(VALU_DEP_4) | instskip(SKIP_1) | instid1(VALU_DEP_4)
	v_fma_f32 v43, v108, 2.0, -v109
	v_sub_f32_e32 v111, v113, v47
	v_fma_f32 v108, v105, 2.0, -v119
	v_fma_f32 v105, v107, 2.0, -v112
	s_delay_alu instid0(VALU_DEP_4) | instskip(NEXT) | instid1(VALU_DEP_4)
	v_dual_fmamk_f32 v107, v112, 0x3f3504f3, v116 :: v_dual_sub_f32 v44, v110, v43
	v_fma_f32 v47, v113, 2.0, -v111
	v_fma_f32 v43, v104, 2.0, -v39
	;; [unrolled: 1-line block ×3, first 2 shown]
	s_delay_alu instid0(VALU_DEP_4)
	v_fmac_f32_e32 v107, 0xbf3504f3, v119
	v_fma_f32 v104, v110, 2.0, -v44
	v_dual_add_f32 v110, v114, v111 :: v_dual_sub_f32 v111, v115, v109
	v_fma_f32 v118, v42, 2.0, -v117
	v_fma_f32 v19, v19, 2.0, -v13
	;; [unrolled: 1-line block ×3, first 2 shown]
	v_sub_f32_e32 v45, v106, v47
	v_fma_f32 v113, v115, 2.0, -v111
	v_fma_f32 v115, v116, 2.0, -v107
	scratch_load_b32 v116, off, off offset:60 ; 4-byte Folded Reload
	v_fmamk_f32 v46, v108, 0xbf3504f3, v118
	v_fmamk_f32 v47, v105, 0xbf3504f3, v120
	s_delay_alu instid0(VALU_DEP_2) | instskip(SKIP_2) | instid1(VALU_DEP_4)
	v_fmac_f32_e32 v46, 0x3f3504f3, v105
	v_fma_f32 v105, v106, 2.0, -v45
	v_fmamk_f32 v106, v119, 0x3f3504f3, v117
	v_fmac_f32_e32 v47, 0xbf3504f3, v108
	s_waitcnt vmcnt(0)
	ds_store_2addr_b64 v116, v[16:17], v[18:19] offset1:10
	ds_store_2addr_b64 v116, v[24:25], v[28:29] offset0:20 offset1:30
	ds_store_2addr_b64 v116, v[14:15], v[12:13] offset0:40 offset1:50
	;; [unrolled: 1-line block ×3, first 2 shown]
	scratch_load_b32 v12, off, off offset:56 ; 4-byte Folded Reload
	v_fmac_f32_e32 v106, 0x3f3504f3, v112
	v_fma_f32 v108, v118, 2.0, -v46
	v_fma_f32 v109, v120, 2.0, -v47
	;; [unrolled: 1-line block ×3, first 2 shown]
	s_waitcnt vmcnt(0)
	ds_store_2addr_b64 v12, v[32:33], v[34:35] offset1:10
	ds_store_2addr_b64 v12, v[40:41], v[42:43] offset0:20 offset1:30
	ds_store_2addr_b64 v12, v[30:31], v[26:27] offset0:40 offset1:50
	;; [unrolled: 1-line block ×3, first 2 shown]
	scratch_load_b32 v12, off, off offset:52 ; 4-byte Folded Reload
	v_fma_f32 v114, v117, 2.0, -v106
	s_waitcnt vmcnt(0)
	ds_store_2addr_b64 v12, v[104:105], v[108:109] offset1:10
	ds_store_2addr_b64 v12, v[112:113], v[114:115] offset0:20 offset1:30
	ds_store_2addr_b64 v12, v[44:45], v[46:47] offset0:40 offset1:50
	;; [unrolled: 1-line block ×3, first 2 shown]
	s_and_saveexec_b32 s0, vcc_lo
	s_cbranch_execz .LBB0_9
; %bb.8:
	v_dual_mul_f32 v12, v3, v100 :: v_dual_mul_f32 v15, v5, v94
	v_mul_f32_e32 v14, v11, v57
	v_dual_mul_f32 v13, v7, v97 :: v_dual_mul_f32 v16, v9, v102
	v_mul_f32_e32 v7, v7, v96
	s_delay_alu instid0(VALU_DEP_4) | instskip(NEXT) | instid1(VALU_DEP_4)
	v_fma_f32 v12, v2, v101, -v12
	v_fmac_f32_e32 v14, v10, v56
	s_delay_alu instid0(VALU_DEP_4) | instskip(SKIP_3) | instid1(VALU_DEP_4)
	v_fmac_f32_e32 v13, v6, v96
	v_fma_f32 v15, v4, v95, -v15
	v_fma_f32 v16, v8, v103, -v16
	v_dual_sub_f32 v12, v93, v12 :: v_dual_mul_f32 v19, v214, v58
	v_sub_f32_e32 v14, v13, v14
	v_mul_f32_e32 v17, v1, v99
	s_delay_alu instid0(VALU_DEP_4) | instskip(SKIP_1) | instid1(VALU_DEP_2)
	v_dual_mul_f32 v1, v1, v98 :: v_dual_sub_f32 v16, v15, v16
	v_mul_f32_e32 v3, v3, v101
	v_fma_f32 v21, v0, v99, -v1
	v_mul_f32_e32 v1, v9, v103
	v_dual_mul_f32 v9, v11, v56 :: v_dual_sub_f32 v20, v12, v14
	v_dual_mul_f32 v18, v214, v59 :: v_dual_fmac_f32 v17, v0, v98
	v_fma_f32 v0, v213, v59, -v19
	v_fmac_f32_e32 v3, v2, v100
	v_fma_f32 v11, v93, 2.0, -v12
	s_delay_alu instid0(VALU_DEP_4) | instskip(SKIP_1) | instid1(VALU_DEP_2)
	v_fmac_f32_e32 v18, v213, v58
	v_fma_f32 v12, v12, 2.0, -v20
	v_sub_f32_e32 v18, v17, v18
	s_delay_alu instid0(VALU_DEP_1) | instskip(NEXT) | instid1(VALU_DEP_1)
	v_dual_mul_f32 v5, v5, v95 :: v_dual_sub_f32 v2, v16, v18
	v_fmac_f32_e32 v5, v4, v94
	v_fma_f32 v4, v6, v97, -v7
	v_fma_f32 v6, v10, v57, -v9
	s_delay_alu instid0(VALU_DEP_1) | instskip(SKIP_1) | instid1(VALU_DEP_2)
	v_dual_sub_f32 v7, v21, v0 :: v_dual_sub_f32 v0, v4, v6
	v_sub_f32_e32 v6, v92, v3
	v_fma_f32 v3, v4, 2.0, -v0
	v_fma_f32 v4, v17, 2.0, -v18
	v_fmac_f32_e32 v1, v8, v102
	s_delay_alu instid0(VALU_DEP_4) | instskip(SKIP_1) | instid1(VALU_DEP_3)
	v_add_f32_e32 v10, v0, v6
	v_fma_f32 v22, v92, 2.0, -v6
	v_dual_sub_f32 v8, v5, v1 :: v_dual_fmamk_f32 v1, v2, 0x3f3504f3, v20
	s_delay_alu instid0(VALU_DEP_3) | instskip(NEXT) | instid1(VALU_DEP_2)
	v_fma_f32 v6, v6, 2.0, -v10
	v_add_f32_e32 v9, v7, v8
	v_fma_f32 v7, v21, 2.0, -v7
	s_delay_alu instid0(VALU_DEP_2) | instskip(SKIP_1) | instid1(VALU_DEP_2)
	v_fmamk_f32 v0, v9, 0x3f3504f3, v10
	v_fma_f32 v19, v5, 2.0, -v8
	v_dual_sub_f32 v17, v11, v3 :: v_dual_fmac_f32 v0, 0x3f3504f3, v2
	s_delay_alu instid0(VALU_DEP_2)
	v_sub_f32_e32 v18, v19, v4
	v_fma_f32 v4, v13, 2.0, -v14
	v_fma_f32 v13, v15, 2.0, -v16
	;; [unrolled: 1-line block ×4, first 2 shown]
	v_sub_f32_e32 v5, v17, v18
	s_delay_alu instid0(VALU_DEP_4) | instskip(SKIP_1) | instid1(VALU_DEP_4)
	v_dual_fmac_f32 v1, 0xbf3504f3, v9 :: v_dual_sub_f32 v14, v13, v7
	v_fma_f32 v2, v10, 2.0, -v0
	v_fmamk_f32 v8, v16, 0xbf3504f3, v6
	s_delay_alu instid0(VALU_DEP_4)
	v_fma_f32 v7, v17, 2.0, -v5
	v_fma_f32 v17, v11, 2.0, -v17
	scratch_load_b32 v11, off, off offset:48 ; 4-byte Folded Reload
	v_dual_sub_f32 v21, v22, v4 :: v_dual_fmac_f32 v8, 0x3f3504f3, v15
	v_fmamk_f32 v9, v15, 0xbf3504f3, v12
	v_fma_f32 v10, v13, 2.0, -v14
	v_fma_f32 v13, v19, 2.0, -v18
	s_delay_alu instid0(VALU_DEP_4)
	v_add_f32_e32 v4, v21, v14
	v_fma_f32 v14, v22, 2.0, -v21
	v_fmac_f32_e32 v9, 0xbf3504f3, v16
	v_fma_f32 v3, v20, 2.0, -v1
	s_waitcnt vmcnt(0)
	v_mul_u32_u24_e32 v18, 0x50, v11
	v_dual_sub_f32 v11, v17, v10 :: v_dual_sub_f32 v10, v14, v13
	scratch_load_b32 v13, off, off offset:44 ; 4-byte Folded Reload
	v_fma_f32 v15, v17, 2.0, -v11
	v_fma_f32 v14, v14, 2.0, -v10
	s_waitcnt vmcnt(0)
	v_or_b32_e32 v16, v18, v13
	v_fma_f32 v13, v12, 2.0, -v9
	v_fma_f32 v12, v6, 2.0, -v8
	;; [unrolled: 1-line block ×3, first 2 shown]
	s_delay_alu instid0(VALU_DEP_4)
	v_add_lshl_u32 v16, v162, v16, 3
	ds_store_2addr_b64 v16, v[14:15], v[12:13] offset1:10
	ds_store_2addr_b64 v16, v[6:7], v[2:3] offset0:20 offset1:30
	ds_store_2addr_b64 v16, v[10:11], v[8:9] offset0:40 offset1:50
	;; [unrolled: 1-line block ×3, first 2 shown]
.LBB0_9:
	s_or_b32 exec_lo, exec_lo, s0
	s_waitcnt lgkmcnt(0)
	s_barrier
	buffer_gl0_inv
	ds_load_2addr_b64 v[8:11], v236 offset0:80 offset1:96
	ds_load_2addr_b64 v[12:15], v236 offset0:144 offset1:160
	v_add_nc_u32_e32 v7, 0x400, v236
	v_add_nc_u32_e32 v6, 0x800, v236
	s_mov_b32 s0, 0x11111111
	s_mov_b32 s1, 0x3f611111
	s_waitcnt lgkmcnt(0)
	v_dual_mul_f32 v102, v53, v9 :: v_dual_mul_f32 v103, v55, v15
	ds_load_2addr_b64 v[16:19], v7 offset0:112 offset1:128
	ds_load_2addr_b64 v[20:23], v236 offset0:16 offset1:32
	;; [unrolled: 1-line block ×8, first 2 shown]
	ds_load_b64 v[4:5], v161
	ds_load_b64 v[100:101], v236 offset:3712
	ds_load_2addr_b64 v[44:47], v6 offset0:80 offset1:96
	ds_load_2addr_b64 v[56:59], v6 offset0:16 offset1:32
	;; [unrolled: 1-line block ×3, first 2 shown]
	v_mul_f32_e32 v53, v53, v8
	v_dual_mul_f32 v55, v55, v14 :: v_dual_fmac_f32 v102, v52, v8
	v_fmac_f32_e32 v103, v54, v14
	ds_load_2addr_b64 v[96:99], v6 offset0:112 offset1:128
	v_fma_f32 v8, v52, v9, -v53
	v_fma_f32 v15, v54, v15, -v55
	s_waitcnt lgkmcnt(13)
	v_mul_f32_e32 v14, v61, v16
	s_waitcnt lgkmcnt(9)
	v_dual_mul_f32 v9, v61, v17 :: v_dual_mul_f32 v52, v63, v35
	s_delay_alu instid0(VALU_DEP_2) | instskip(NEXT) | instid1(VALU_DEP_2)
	v_fma_f32 v14, v60, v17, -v14
	v_dual_fmac_f32 v9, v60, v16 :: v_dual_mul_f32 v16, v63, v34
	s_waitcnt lgkmcnt(6)
	s_delay_alu instid0(VALU_DEP_3)
	v_dual_mul_f32 v17, v228, v41 :: v_dual_fmac_f32 v52, v62, v34
	s_waitcnt lgkmcnt(3)
	v_dual_mul_f32 v34, v228, v40 :: v_dual_mul_f32 v53, v87, v47
	v_fma_f32 v16, v62, v35, -v16
	v_mul_f32_e32 v35, v49, v11
	v_dual_fmac_f32 v17, v227, v40 :: v_dual_mul_f32 v40, v49, v10
	s_delay_alu instid0(VALU_DEP_4) | instskip(SKIP_1) | instid1(VALU_DEP_4)
	v_fma_f32 v34, v227, v41, -v34
	v_fmac_f32_e32 v53, v86, v46
	v_dual_fmac_f32 v35, v48, v10 :: v_dual_mul_f32 v10, v51, v24
	s_delay_alu instid0(VALU_DEP_4) | instskip(SKIP_4) | instid1(VALU_DEP_3)
	v_fma_f32 v40, v48, v11, -v40
	v_dual_mul_f32 v48, v77, v19 :: v_dual_mul_f32 v41, v51, v25
	v_mul_f32_e32 v11, v77, v18
	s_waitcnt lgkmcnt(1)
	v_mul_f32_e32 v55, v226, v93
	v_dual_mul_f32 v61, v65, v59 :: v_dual_fmac_f32 v48, v76, v18
	v_fmac_f32_e32 v41, v50, v24
	v_fma_f32 v24, v50, v25, -v10
	v_mul_f32_e32 v50, v85, v57
	v_mul_f32_e32 v25, v79, v45
	;; [unrolled: 1-line block ×3, first 2 shown]
	v_fma_f32 v18, v76, v19, -v11
	v_mul_f32_e32 v19, v224, v43
	v_mul_f32_e32 v11, v224, v42
	v_fmac_f32_e32 v25, v78, v44
	v_fma_f32 v44, v78, v45, -v10
	v_mul_f32_e32 v10, v89, v28
	v_dual_mul_f32 v45, v89, v29 :: v_dual_fmac_f32 v50, v84, v56
	s_waitcnt lgkmcnt(0)
	v_mul_f32_e32 v63, v67, v97
	v_fmac_f32_e32 v61, v64, v58
	v_fma_f32 v49, v88, v29, -v10
	v_dual_mul_f32 v10, v85, v56 :: v_dual_fmac_f32 v19, v223, v42
	s_delay_alu instid0(VALU_DEP_4) | instskip(SKIP_1) | instid1(VALU_DEP_3)
	v_fmac_f32_e32 v63, v66, v96
	v_fmac_f32_e32 v45, v88, v28
	v_fma_f32 v54, v84, v57, -v10
	v_mul_f32_e32 v10, v226, v92
	v_fma_f32 v42, v223, v43, -v11
	v_mul_f32_e32 v11, v91, v26
	v_mul_f32_e32 v57, v71, v37
	;; [unrolled: 1-line block ×3, first 2 shown]
	v_fma_f32 v56, v225, v93, -v10
	v_mul_f32_e32 v10, v71, v36
	v_fma_f32 v51, v90, v27, -v11
	v_mul_f32_e32 v11, v87, v46
	v_fmac_f32_e32 v57, v70, v36
	s_delay_alu instid0(VALU_DEP_4) | instskip(SKIP_1) | instid1(VALU_DEP_4)
	v_fma_f32 v62, v70, v37, -v10
	v_mul_f32_e32 v10, v67, v96
	v_fma_f32 v46, v86, v47, -v11
	v_mul_f32_e32 v11, v69, v30
	v_mul_f32_e32 v47, v69, v31
	;; [unrolled: 1-line block ×3, first 2 shown]
	s_delay_alu instid0(VALU_DEP_3) | instskip(SKIP_1) | instid1(VALU_DEP_4)
	v_fma_f32 v60, v68, v31, -v11
	v_mul_f32_e32 v11, v65, v58
	v_fmac_f32_e32 v47, v68, v30
	v_mul_f32_e32 v65, v73, v13
	v_fmac_f32_e32 v67, v74, v38
	s_delay_alu instid0(VALU_DEP_4)
	v_fma_f32 v58, v64, v59, -v11
	v_mul_f32_e32 v11, v222, v94
	v_fma_f32 v64, v66, v97, -v10
	v_mul_f32_e32 v10, v73, v12
	v_fmac_f32_e32 v65, v72, v12
	v_add_f32_e32 v12, v4, v103
	v_fma_f32 v66, v221, v95, -v11
	v_mul_f32_e32 v11, v75, v38
	v_fma_f32 v68, v72, v13, -v10
	v_dual_mul_f32 v10, v81, v32 :: v_dual_fmac_f32 v43, v90, v26
	v_add_f32_e32 v26, v12, v52
	s_delay_alu instid0(VALU_DEP_4) | instskip(SKIP_1) | instid1(VALU_DEP_4)
	v_fma_f32 v70, v74, v39, -v11
	v_mul_f32_e32 v11, v83, v98
	v_fma_f32 v72, v80, v33, -v10
	v_mul_f32_e32 v10, v230, v100
	v_dual_add_f32 v12, v5, v15 :: v_dual_add_f32 v13, v8, v14
	s_delay_alu instid0(VALU_DEP_4) | instskip(SKIP_1) | instid1(VALU_DEP_4)
	v_fma_f32 v74, v82, v99, -v11
	v_add_f32_e32 v11, v103, v52
	v_fma_f32 v75, v229, v101, -v10
	v_add_f32_e32 v10, v15, v16
	v_dual_add_f32 v27, v12, v16 :: v_dual_add_f32 v12, v9, v17
	s_delay_alu instid0(VALU_DEP_4) | instskip(SKIP_4) | instid1(VALU_DEP_4)
	v_fma_f32 v4, -0.5, v11, v4
	v_sub_f32_e32 v11, v15, v16
	v_fmac_f32_e32 v55, v225, v92
	v_dual_fmac_f32 v5, -0.5, v10 :: v_dual_sub_f32 v10, v103, v52
	v_add_f32_e32 v29, v13, v34
	v_fmamk_f32 v15, v11, 0xbf5db3d7, v4
	v_dual_fmac_f32 v4, 0x3f5db3d7, v11 :: v_dual_add_f32 v11, v14, v34
	s_delay_alu instid0(VALU_DEP_4) | instskip(SKIP_2) | instid1(VALU_DEP_4)
	v_fmamk_f32 v28, v10, 0x3f5db3d7, v5
	v_fmac_f32_e32 v5, 0xbf5db3d7, v10
	v_mul_f32_e32 v71, v83, v99
	v_dual_mul_f32 v73, v230, v101 :: v_dual_fmac_f32 v8, -0.5, v11
	v_sub_f32_e32 v11, v9, v17
	v_dual_add_f32 v9, v102, v9 :: v_dual_fmac_f32 v102, -0.5, v12
	v_sub_f32_e32 v12, v14, v34
	s_delay_alu instid0(VALU_DEP_3) | instskip(NEXT) | instid1(VALU_DEP_2)
	v_dual_fmamk_f32 v10, v11, 0x3f5db3d7, v8 :: v_dual_mul_f32 v59, v222, v95
	v_dual_add_f32 v14, v9, v17 :: v_dual_fmamk_f32 v9, v12, 0xbf5db3d7, v102
	v_fmac_f32_e32 v8, 0xbf5db3d7, v11
	s_delay_alu instid0(VALU_DEP_3) | instskip(SKIP_2) | instid1(VALU_DEP_3)
	v_mul_f32_e32 v16, 0xbf5db3d7, v10
	v_mul_f32_e32 v30, 0.5, v10
	v_dual_fmac_f32 v59, v221, v94 :: v_dual_fmac_f32 v102, 0x3f5db3d7, v12
	v_dual_mul_f32 v17, 0xbf5db3d7, v8 :: v_dual_fmac_f32 v16, 0.5, v9
	v_mul_f32_e32 v69, v81, v33
	v_dual_mul_f32 v31, -0.5, v8 :: v_dual_add_f32 v8, v26, v14
	v_fmac_f32_e32 v30, 0x3f5db3d7, v9
	s_delay_alu instid0(VALU_DEP_4)
	v_add_f32_e32 v10, v15, v16
	v_dual_add_f32 v9, v27, v29 :: v_dual_sub_f32 v14, v26, v14
	v_sub_f32_e32 v16, v15, v16
	v_sub_f32_e32 v15, v27, v29
	v_add_f32_e32 v26, v41, v25
	v_add_f32_e32 v27, v20, v41
	v_fmac_f32_e32 v69, v80, v32
	v_fmac_f32_e32 v71, v82, v98
	;; [unrolled: 1-line block ×3, first 2 shown]
	v_fma_f32 v29, -0.5, v26, v20
	v_sub_f32_e32 v20, v24, v44
	v_dual_add_f32 v26, v27, v25 :: v_dual_fmac_f32 v17, -0.5, v102
	v_add_f32_e32 v11, v28, v30
	v_fmac_f32_e32 v73, v229, v100
	s_delay_alu instid0(VALU_DEP_4) | instskip(NEXT) | instid1(VALU_DEP_4)
	v_fmamk_f32 v27, v20, 0xbf5db3d7, v29
	v_dual_fmac_f32 v29, 0x3f5db3d7, v20 :: v_dual_add_f32 v12, v4, v17
	v_sub_f32_e32 v4, v4, v17
	v_sub_f32_e32 v17, v28, v30
	v_add_f32_e32 v28, v24, v44
	v_add_f32_e32 v24, v21, v24
	v_dual_add_f32 v20, v18, v42 :: v_dual_add_f32 v13, v5, v31
	v_sub_f32_e32 v5, v5, v31
	s_delay_alu instid0(VALU_DEP_4) | instskip(NEXT) | instid1(VALU_DEP_4)
	v_fma_f32 v31, -0.5, v28, v21
	v_dual_sub_f32 v21, v41, v25 :: v_dual_add_f32 v32, v24, v44
	v_add_f32_e32 v24, v48, v19
	v_dual_add_f32 v25, v40, v18 :: v_dual_fmac_f32 v40, -0.5, v20
	s_delay_alu instid0(VALU_DEP_3) | instskip(SKIP_1) | instid1(VALU_DEP_4)
	v_dual_sub_f32 v20, v48, v19 :: v_dual_fmamk_f32 v33, v21, 0x3f5db3d7, v31
	v_add_f32_e32 v28, v35, v48
	v_dual_fmac_f32 v35, -0.5, v24 :: v_dual_sub_f32 v18, v18, v42
	v_fmac_f32_e32 v31, 0xbf5db3d7, v21
	s_delay_alu instid0(VALU_DEP_4) | instskip(SKIP_1) | instid1(VALU_DEP_4)
	v_fmamk_f32 v21, v20, 0x3f5db3d7, v40
	v_fmac_f32_e32 v40, 0xbf5db3d7, v20
	v_dual_add_f32 v28, v28, v19 :: v_dual_fmamk_f32 v19, v18, 0xbf5db3d7, v35
	v_fmac_f32_e32 v35, 0x3f5db3d7, v18
	s_delay_alu instid0(VALU_DEP_4) | instskip(NEXT) | instid1(VALU_DEP_4)
	v_mul_f32_e32 v30, 0xbf5db3d7, v21
	v_mul_f32_e32 v34, 0xbf5db3d7, v40
	v_dual_add_f32 v36, v25, v42 :: v_dual_mul_f32 v37, 0.5, v21
	v_mul_f32_e32 v38, -0.5, v40
	s_delay_alu instid0(VALU_DEP_4) | instskip(NEXT) | instid1(VALU_DEP_4)
	v_fmac_f32_e32 v30, 0.5, v19
	v_fmac_f32_e32 v34, -0.5, v35
	v_add_f32_e32 v18, v26, v28
	v_sub_f32_e32 v26, v26, v28
	v_fmac_f32_e32 v38, 0x3f5db3d7, v35
	v_add_f32_e32 v20, v27, v30
	v_dual_sub_f32 v28, v27, v30 :: v_dual_sub_f32 v27, v32, v36
	v_add_f32_e32 v35, v49, v54
	v_fmac_f32_e32 v37, 0x3f5db3d7, v19
	v_dual_add_f32 v19, v32, v36 :: v_dual_add_f32 v32, v43, v53
	v_add_f32_e32 v36, v45, v50
	v_add_f32_e32 v24, v29, v34
	s_delay_alu instid0(VALU_DEP_4)
	v_add_f32_e32 v21, v33, v37
	v_sub_f32_e32 v30, v29, v34
	v_add_f32_e32 v34, v51, v46
	v_dual_add_f32 v40, v36, v55 :: v_dual_sub_f32 v29, v33, v37
	v_add_f32_e32 v33, v22, v43
	v_fma_f32 v22, -0.5, v32, v22
	v_sub_f32_e32 v32, v51, v46
	v_add_f32_e32 v25, v31, v38
	s_delay_alu instid0(VALU_DEP_2) | instskip(SKIP_4) | instid1(VALU_DEP_3)
	v_fmamk_f32 v39, v32, 0xbf5db3d7, v22
	v_fmac_f32_e32 v22, 0x3f5db3d7, v32
	v_dual_add_f32 v32, v54, v56 :: v_dual_sub_f32 v31, v31, v38
	v_dual_add_f32 v38, v33, v53 :: v_dual_add_f32 v33, v23, v51
	v_dual_fmac_f32 v23, -0.5, v34 :: v_dual_sub_f32 v34, v43, v53
	v_dual_fmac_f32 v49, -0.5, v32 :: v_dual_sub_f32 v32, v50, v55
	s_delay_alu instid0(VALU_DEP_2) | instskip(SKIP_1) | instid1(VALU_DEP_3)
	v_fmamk_f32 v42, v34, 0x3f5db3d7, v23
	v_fmac_f32_e32 v23, 0xbf5db3d7, v34
	v_fmamk_f32 v34, v32, 0x3f5db3d7, v49
	v_fmac_f32_e32 v49, 0xbf5db3d7, v32
	v_add_f32_e32 v32, v38, v40
	v_dual_sub_f32 v38, v38, v40 :: v_dual_add_f32 v41, v33, v46
	s_delay_alu instid0(VALU_DEP_3) | instskip(SKIP_2) | instid1(VALU_DEP_3)
	v_dual_add_f32 v33, v50, v55 :: v_dual_mul_f32 v44, 0xbf5db3d7, v49
	v_mul_f32_e32 v43, 0xbf5db3d7, v34
	v_dual_mul_f32 v48, 0.5, v34 :: v_dual_mul_f32 v49, -0.5, v49
	v_fmac_f32_e32 v45, -0.5, v33
	v_sub_f32_e32 v33, v54, v56
	s_delay_alu instid0(VALU_DEP_1) | instskip(SKIP_1) | instid1(VALU_DEP_1)
	v_fmamk_f32 v36, v33, 0xbf5db3d7, v45
	v_fmac_f32_e32 v45, 0x3f5db3d7, v33
	v_dual_fmac_f32 v43, 0.5, v36 :: v_dual_fmac_f32 v44, -0.5, v45
	v_fmac_f32_e32 v48, 0x3f5db3d7, v36
	s_delay_alu instid0(VALU_DEP_2) | instskip(SKIP_3) | instid1(VALU_DEP_2)
	v_add_f32_e32 v36, v22, v44
	v_sub_f32_e32 v22, v22, v44
	v_add_f32_e32 v44, v62, v64
	v_add_f32_e32 v46, v35, v56
	v_fma_f32 v51, -0.5, v44, v1
	v_add_f32_e32 v44, v47, v61
	s_delay_alu instid0(VALU_DEP_3) | instskip(SKIP_1) | instid1(VALU_DEP_3)
	v_dual_add_f32 v34, v39, v43 :: v_dual_add_f32 v33, v41, v46
	v_dual_add_f32 v35, v42, v48 :: v_dual_sub_f32 v40, v39, v43
	v_dual_add_f32 v50, v44, v59 :: v_dual_sub_f32 v39, v41, v46
	v_dual_sub_f32 v41, v42, v48 :: v_dual_add_f32 v42, v0, v57
	v_add_f32_e32 v43, v57, v63
	s_delay_alu instid0(VALU_DEP_2) | instskip(SKIP_1) | instid1(VALU_DEP_1)
	v_add_f32_e32 v46, v42, v63
	v_add_f32_e32 v42, v1, v62
	v_dual_sub_f32 v1, v57, v63 :: v_dual_add_f32 v52, v42, v64
	v_dual_add_f32 v42, v61, v59 :: v_dual_fmac_f32 v49, 0x3f5db3d7, v45
	s_delay_alu instid0(VALU_DEP_1) | instskip(NEXT) | instid1(VALU_DEP_2)
	v_fmac_f32_e32 v47, -0.5, v42
	v_dual_sub_f32 v42, v58, v66 :: v_dual_add_f32 v37, v23, v49
	s_delay_alu instid0(VALU_DEP_1) | instskip(SKIP_2) | instid1(VALU_DEP_1)
	v_dual_fmamk_f32 v44, v42, 0xbf5db3d7, v47 :: v_dual_sub_f32 v23, v23, v49
	v_fma_f32 v49, -0.5, v43, v0
	v_dual_sub_f32 v0, v62, v64 :: v_dual_fmac_f32 v47, 0x3f5db3d7, v42
	v_fmamk_f32 v48, v0, 0xbf5db3d7, v49
	v_dual_fmac_f32 v49, 0x3f5db3d7, v0 :: v_dual_add_f32 v0, v58, v66
	v_add_f32_e32 v43, v60, v58
	v_fmamk_f32 v53, v1, 0x3f5db3d7, v51
	s_delay_alu instid0(VALU_DEP_3) | instskip(SKIP_1) | instid1(VALU_DEP_1)
	v_dual_fmac_f32 v51, 0xbf5db3d7, v1 :: v_dual_fmac_f32 v60, -0.5, v0
	v_sub_f32_e32 v0, v61, v59
	v_fmamk_f32 v1, v0, 0x3f5db3d7, v60
	v_fmac_f32_e32 v60, 0xbf5db3d7, v0
	v_add_f32_e32 v0, v46, v50
	v_sub_f32_e32 v46, v46, v50
	s_delay_alu instid0(VALU_DEP_4) | instskip(NEXT) | instid1(VALU_DEP_4)
	v_mul_f32_e32 v54, 0xbf5db3d7, v1
	v_dual_mul_f32 v57, 0.5, v1 :: v_dual_mul_f32 v58, -0.5, v60
	s_delay_alu instid0(VALU_DEP_2) | instskip(SKIP_1) | instid1(VALU_DEP_3)
	v_fmac_f32_e32 v54, 0.5, v44
	v_mul_f32_e32 v55, 0xbf5db3d7, v60
	v_fmac_f32_e32 v58, 0x3f5db3d7, v47
	s_delay_alu instid0(VALU_DEP_3) | instskip(NEXT) | instid1(VALU_DEP_3)
	v_add_f32_e32 v42, v48, v54
	v_dual_sub_f32 v48, v48, v54 :: v_dual_fmac_f32 v55, -0.5, v47
	v_dual_add_f32 v54, v70, v74 :: v_dual_fmac_f32 v57, 0x3f5db3d7, v44
	s_delay_alu instid0(VALU_DEP_4) | instskip(NEXT) | instid1(VALU_DEP_3)
	v_add_f32_e32 v45, v51, v58
	v_dual_sub_f32 v51, v51, v58 :: v_dual_add_f32 v44, v49, v55
	s_delay_alu instid0(VALU_DEP_3) | instskip(SKIP_3) | instid1(VALU_DEP_4)
	v_dual_add_f32 v56, v43, v66 :: v_dual_add_f32 v43, v53, v57
	v_sub_f32_e32 v50, v49, v55
	v_sub_f32_e32 v49, v53, v57
	v_add_f32_e32 v53, v2, v67
	v_sub_f32_e32 v47, v52, v56
	s_delay_alu instid0(VALU_DEP_2)
	v_dual_add_f32 v55, v68, v72 :: v_dual_add_f32 v58, v53, v71
	v_add_f32_e32 v53, v3, v70
	v_dual_fmac_f32 v3, -0.5, v54 :: v_dual_sub_f32 v54, v67, v71
	v_dual_add_f32 v1, v52, v56 :: v_dual_add_f32 v52, v67, v71
	v_add_f32_e32 v56, v65, v69
	v_add_f32_e32 v66, v55, v75
	s_delay_alu instid0(VALU_DEP_3) | instskip(SKIP_1) | instid1(VALU_DEP_4)
	v_fma_f32 v2, -0.5, v52, v2
	v_sub_f32_e32 v52, v70, v74
	v_add_f32_e32 v60, v56, v73
	v_fmamk_f32 v62, v54, 0x3f5db3d7, v3
	s_delay_alu instid0(VALU_DEP_3) | instskip(SKIP_2) | instid1(VALU_DEP_1)
	v_fmamk_f32 v59, v52, 0xbf5db3d7, v2
	v_fmac_f32_e32 v2, 0x3f5db3d7, v52
	v_dual_add_f32 v52, v72, v75 :: v_dual_fmac_f32 v3, 0xbf5db3d7, v54
	v_fmac_f32_e32 v68, -0.5, v52
	v_sub_f32_e32 v52, v69, v73
	s_delay_alu instid0(VALU_DEP_1) | instskip(SKIP_2) | instid1(VALU_DEP_3)
	v_fmamk_f32 v54, v52, 0x3f5db3d7, v68
	v_dual_fmac_f32 v68, 0xbf5db3d7, v52 :: v_dual_add_f32 v61, v53, v74
	v_dual_add_f32 v53, v69, v73 :: v_dual_add_f32 v52, v58, v60
	v_dual_mul_f32 v63, 0xbf5db3d7, v54 :: v_dual_sub_f32 v58, v58, v60
	s_delay_alu instid0(VALU_DEP_2) | instskip(SKIP_1) | instid1(VALU_DEP_1)
	v_dual_mul_f32 v64, 0xbf5db3d7, v68 :: v_dual_fmac_f32 v65, -0.5, v53
	v_dual_mul_f32 v68, -0.5, v68 :: v_dual_sub_f32 v53, v72, v75
	v_fmamk_f32 v56, v53, 0xbf5db3d7, v65
	v_fmac_f32_e32 v65, 0x3f5db3d7, v53
	v_mul_f32_e32 v67, 0.5, v54
	s_delay_alu instid0(VALU_DEP_2) | instskip(NEXT) | instid1(VALU_DEP_2)
	v_dual_fmac_f32 v63, 0.5, v56 :: v_dual_fmac_f32 v64, -0.5, v65
	v_fmac_f32_e32 v67, 0x3f5db3d7, v56
	s_delay_alu instid0(VALU_DEP_2) | instskip(NEXT) | instid1(VALU_DEP_3)
	v_dual_add_f32 v53, v61, v66 :: v_dual_add_f32 v54, v59, v63
	v_add_f32_e32 v56, v2, v64
	v_sub_f32_e32 v2, v2, v64
	v_fmac_f32_e32 v68, 0x3f5db3d7, v65
	v_sub_f32_e32 v60, v59, v63
	v_add_f32_e32 v55, v62, v67
	v_sub_f32_e32 v59, v61, v66
	v_sub_f32_e32 v61, v62, v67
	v_add_f32_e32 v57, v3, v68
	v_sub_f32_e32 v3, v3, v68
	ds_store_b64 v161, v[8:9]
	ds_store_2addr_b64 v236, v[10:11], v[20:21] offset0:80 offset1:96
	ds_store_2addr_b64 v7, v[14:15], v[26:27] offset0:112 offset1:128
	;; [unrolled: 1-line block ×14, first 2 shown]
	ds_store_b64 v236, v[2:3] offset:3712
	s_waitcnt lgkmcnt(0)
	s_barrier
	buffer_gl0_inv
	ds_load_b64 v[4:5], v161
	ds_load_2addr_b64 v[0:3], v236 offset0:48 offset1:64
	ds_load_b64 v[40:41], v236 offset:3712
	scratch_load_b64 v[12:13], off, off offset:12 ; 8-byte Folded Reload
	v_mad_u64_u32 v[28:29], null, s6, v152, 0
	s_waitcnt lgkmcnt(2)
	v_mul_f32_e32 v8, v192, v5
	v_mul_f32_e32 v9, v192, v4
	s_delay_alu instid0(VALU_DEP_2) | instskip(NEXT) | instid1(VALU_DEP_2)
	v_fmac_f32_e32 v8, v191, v4
	v_fma_f32 v9, v191, v5, -v9
	s_delay_alu instid0(VALU_DEP_2) | instskip(NEXT) | instid1(VALU_DEP_2)
	v_cvt_f64_f32_e32 v[4:5], v8
	v_cvt_f64_f32_e32 v[24:25], v9
	s_delay_alu instid0(VALU_DEP_2) | instskip(NEXT) | instid1(VALU_DEP_2)
	v_mul_f64 v[4:5], v[4:5], s[0:1]
	v_mul_f64 v[24:25], v[24:25], s[0:1]
	s_delay_alu instid0(VALU_DEP_2) | instskip(NEXT) | instid1(VALU_DEP_2)
	v_cvt_f32_f64_e32 v4, v[4:5]
	v_cvt_f32_f64_e32 v5, v[24:25]
	s_waitcnt vmcnt(0) lgkmcnt(1)
	v_mul_f32_e32 v10, v13, v1
	v_mul_f32_e32 v11, v13, v0
	s_delay_alu instid0(VALU_DEP_2) | instskip(NEXT) | instid1(VALU_DEP_2)
	v_fmac_f32_e32 v10, v12, v0
	v_fma_f32 v8, v12, v1, -v11
	s_delay_alu instid0(VALU_DEP_2) | instskip(NEXT) | instid1(VALU_DEP_2)
	v_cvt_f64_f32_e32 v[0:1], v10
	v_cvt_f64_f32_e32 v[26:27], v8
	ds_load_2addr_b64 v[8:11], v236 offset0:80 offset1:96
	ds_load_2addr_b64 v[12:15], v236 offset0:144 offset1:160
	ds_load_2addr_b64 v[16:19], v236 offset0:176 offset1:192
	ds_load_2addr_b64 v[20:23], v7 offset0:112 offset1:128
	s_waitcnt lgkmcnt(3)
	v_mul_f32_e32 v30, v196, v11
	v_mul_f32_e32 v7, v196, v10
	s_waitcnt lgkmcnt(1)
	v_mul_f32_e32 v36, v208, v18
	v_mul_f32_e32 v64, v178, v15
	v_fmac_f32_e32 v30, v195, v10
	v_mul_f32_e32 v10, v202, v13
	s_delay_alu instid0(VALU_DEP_3) | instskip(NEXT) | instid1(VALU_DEP_3)
	v_fmac_f32_e32 v64, v177, v14
	v_cvt_f64_f32_e32 v[30:31], v30
	s_delay_alu instid0(VALU_DEP_3) | instskip(SKIP_3) | instid1(VALU_DEP_4)
	v_fmac_f32_e32 v10, v201, v12
	v_fma_f32 v7, v195, v11, -v7
	v_dual_mul_f32 v11, v202, v12 :: v_dual_mul_f32 v12, v208, v19
	v_cvt_f64_f32_e32 v[64:65], v64
	v_cvt_f64_f32_e32 v[34:35], v10
	v_fma_f32 v10, v207, v19, -v36
	v_cvt_f64_f32_e32 v[32:33], v7
	v_fmac_f32_e32 v12, v207, v18
	scratch_load_b64 v[18:19], off, off offset:36 ; 8-byte Folded Reload
	v_fma_f32 v7, v201, v13, -v11
	v_mul_f64 v[0:1], v[0:1], s[0:1]
	v_mul_f64 v[26:27], v[26:27], s[0:1]
	v_cvt_f64_f32_e32 v[42:43], v10
	s_delay_alu instid0(VALU_DEP_4)
	v_cvt_f64_f32_e32 v[36:37], v7
	v_mul_f64 v[30:31], v[30:31], s[0:1]
	v_mul_f64 v[34:35], v[34:35], s[0:1]
	;; [unrolled: 1-line block ×3, first 2 shown]
	v_cvt_f32_f64_e32 v0, v[0:1]
	v_cvt_f32_f64_e32 v1, v[26:27]
	v_mul_f64 v[42:43], v[42:43], s[0:1]
	v_mul_f64 v[36:37], v[36:37], s[0:1]
	s_delay_alu instid0(VALU_DEP_2)
	v_cvt_f32_f64_e32 v55, v[42:43]
	s_waitcnt vmcnt(0) lgkmcnt(0)
	v_mul_f32_e32 v11, v19, v21
	v_mul_f32_e32 v13, v19, v20
	scratch_load_b32 v19, off, off          ; 4-byte Folded Reload
	v_fmac_f32_e32 v11, v18, v20
	v_cvt_f64_f32_e32 v[38:39], v12
	v_fma_f32 v7, v18, v21, -v13
	s_delay_alu instid0(VALU_DEP_3) | instskip(SKIP_4) | instid1(VALU_DEP_1)
	v_cvt_f64_f32_e32 v[46:47], v11
	ds_load_2addr_b64 v[10:13], v6 offset0:16 offset1:32
	v_cvt_f64_f32_e32 v[48:49], v7
	s_waitcnt lgkmcnt(0)
	v_dual_mov_b32 v7, v29 :: v_dual_mul_f32 v26, v204, v12
	v_mad_u64_u32 v[50:51], null, s7, v152, v[7:8]
	v_mul_f32_e32 v7, v204, v13
	s_delay_alu instid0(VALU_DEP_3) | instskip(NEXT) | instid1(VALU_DEP_2)
	v_fma_f32 v26, v203, v13, -v26
	v_fmac_f32_e32 v7, v203, v12
	s_delay_alu instid0(VALU_DEP_4) | instskip(SKIP_1) | instid1(VALU_DEP_2)
	v_mov_b32_e32 v29, v50
	v_mul_f64 v[38:39], v[38:39], s[0:1]
	v_lshlrev_b64 v[24:25], 3, v[28:29]
	v_mul_f64 v[12:13], v[46:47], s[0:1]
	v_cvt_f64_f32_e32 v[46:47], v7
	s_delay_alu instid0(VALU_DEP_3) | instskip(NEXT) | instid1(VALU_DEP_4)
	v_add_co_u32 v7, vcc_lo, s2, v24
	v_add_co_ci_u32_e32 v24, vcc_lo, s3, v25, vcc_lo
	s_mul_i32 s2, s5, 0x180
	s_mul_hi_u32 s3, s4, 0x180
	s_delay_alu instid0(SALU_CYCLE_1)
	s_add_i32 s2, s3, s2
	s_mul_i32 s3, s4, 0x180
	v_cvt_f32_f64_e32 v54, v[38:39]
	v_cvt_f32_f64_e32 v12, v[12:13]
	v_mul_f64 v[42:43], v[46:47], s[0:1]
	s_waitcnt vmcnt(0)
	v_mad_u64_u32 v[44:45], null, s4, v19, 0
	s_delay_alu instid0(VALU_DEP_1) | instskip(NEXT) | instid1(VALU_DEP_1)
	v_mov_b32_e32 v18, v45
	v_mad_u64_u32 v[51:52], null, s5, v19, v[18:19]
	ds_load_2addr_b64 v[18:21], v6 offset0:80 offset1:96
	v_mul_f32_e32 v61, v178, v14
	s_mulk_i32 s5, 0xf300
	s_delay_alu instid0(SALU_CYCLE_1) | instskip(SKIP_1) | instid1(VALU_DEP_2)
	s_sub_i32 s5, s5, s4
	v_mov_b32_e32 v45, v51
	v_fma_f32 v14, v177, v15, -v61
	s_delay_alu instid0(VALU_DEP_2) | instskip(SKIP_2) | instid1(VALU_DEP_4)
	v_lshlrev_b64 v[28:29], 3, v[44:45]
	v_mul_f64 v[44:45], v[48:49], s[0:1]
	v_cvt_f64_f32_e32 v[48:49], v26
	v_cvt_f64_f32_e32 v[66:67], v14
	s_delay_alu instid0(VALU_DEP_4) | instskip(SKIP_3) | instid1(VALU_DEP_3)
	v_add_co_u32 v28, vcc_lo, v7, v28
	v_add_co_ci_u32_e32 v29, vcc_lo, v24, v29, vcc_lo
	s_waitcnt lgkmcnt(0)
	v_mul_f32_e32 v27, v198, v19
	v_add_co_u32 v52, vcc_lo, v28, s3
	s_delay_alu instid0(VALU_DEP_3) | instskip(NEXT) | instid1(VALU_DEP_3)
	v_add_co_ci_u32_e32 v53, vcc_lo, s2, v29, vcc_lo
	v_fmac_f32_e32 v27, v197, v18
	v_mul_f32_e32 v7, v198, v18
	s_delay_alu instid0(VALU_DEP_2)
	v_cvt_f64_f32_e32 v[50:51], v27
	ds_load_2addr_b64 v[24:27], v6 offset0:112 offset1:128
	s_clause 0x1
	global_store_b64 v[28:29], v[4:5], off
	global_store_b64 v[52:53], v[0:1], off
	s_clause 0x2
	scratch_load_b64 v[57:58], off, off offset:4
	scratch_load_b64 v[59:60], off, off offset:20
	;; [unrolled: 1-line block ×3, first 2 shown]
	v_fma_f32 v7, v197, v19, -v7
	v_cvt_f32_f64_e32 v0, v[30:31]
	ds_load_2addr_b64 v[28:31], v6 offset0:176 offset1:192
	v_add_co_u32 v4, vcc_lo, v52, s3
	v_cvt_f32_f64_e32 v1, v[32:33]
	v_add_co_ci_u32_e32 v5, vcc_lo, s2, v53, vcc_lo
	v_cvt_f32_f64_e32 v52, v[34:35]
	v_cvt_f32_f64_e32 v53, v[36:37]
	ds_load_2addr_b64 v[32:35], v236 offset0:16 offset1:32
	ds_load_2addr_b64 v[36:39], v236 offset0:112 offset1:128
	v_add_co_u32 v14, vcc_lo, v4, s3
	v_cvt_f32_f64_e32 v13, v[44:45]
	s_waitcnt lgkmcnt(3)
	v_mul_f32_e32 v56, v206, v27
	v_mul_f32_e32 v18, v206, v26
	v_mul_f64 v[44:45], v[48:49], s[0:1]
	v_add_co_ci_u32_e32 v15, vcc_lo, s2, v5, vcc_lo
	s_delay_alu instid0(VALU_DEP_4) | instskip(NEXT) | instid1(VALU_DEP_4)
	v_fmac_f32_e32 v56, v205, v26
	v_fma_f32 v48, v205, v27, -v18
	v_cvt_f64_f32_e32 v[26:27], v7
	s_delay_alu instid0(VALU_DEP_3) | instskip(NEXT) | instid1(VALU_DEP_3)
	v_cvt_f64_f32_e32 v[46:47], v56
	v_cvt_f64_f32_e32 v[48:49], v48
	v_mul_f64 v[18:19], v[50:51], s[0:1]
	global_store_b64 v[4:5], v[0:1], off
	v_add_co_u32 v4, vcc_lo, v14, s3
	v_add_co_ci_u32_e32 v5, vcc_lo, s2, v15, vcc_lo
	s_delay_alu instid0(VALU_DEP_2) | instskip(NEXT) | instid1(VALU_DEP_2)
	v_add_co_u32 v68, vcc_lo, v4, s3
	v_add_co_ci_u32_e32 v69, vcc_lo, s2, v5, vcc_lo
	v_mul_f64 v[26:27], v[26:27], s[0:1]
	v_cvt_f32_f64_e32 v18, v[18:19]
	s_waitcnt vmcnt(2) lgkmcnt(2)
	v_mul_f32_e32 v7, v58, v29
	v_mul_f32_e32 v50, v58, v28
	s_waitcnt vmcnt(0) lgkmcnt(1)
	v_dual_mul_f32 v58, v63, v3 :: v_dual_mul_f32 v51, v60, v33
	v_mul_f32_e32 v56, v60, v32
	s_waitcnt lgkmcnt(0)
	v_mul_f32_e32 v60, v174, v36
	v_fma_f32 v50, v57, v29, -v50
	v_fmac_f32_e32 v58, v62, v2
	v_dual_mul_f32 v2, v63, v2 :: v_dual_fmac_f32 v7, v57, v28
	v_fmac_f32_e32 v51, v59, v32
	v_fma_f32 v56, v59, v33, -v56
	v_cvt_f64_f32_e32 v[32:33], v50
	s_delay_alu instid0(VALU_DEP_4)
	v_fma_f32 v2, v62, v3, -v2
	v_fma_f32 v3, v173, v37, -v60
	v_cvt_f64_f32_e32 v[50:51], v51
	v_cvt_f64_f32_e32 v[56:57], v56
	;; [unrolled: 1-line block ×3, first 2 shown]
	v_mul_f32_e32 v7, v174, v37
	v_cvt_f64_f32_e32 v[62:63], v3
	v_cvt_f64_f32_e32 v[58:59], v58
	s_delay_alu instid0(VALU_DEP_3)
	v_fmac_f32_e32 v7, v173, v36
	v_cvt_f64_f32_e32 v[36:37], v2
	ds_load_2addr_b64 v[0:3], v236 offset0:208 offset1:224
	s_clause 0x1
	global_store_b64 v[14:15], v[52:53], off
	global_store_b64 v[4:5], v[54:55], off
	v_cvt_f32_f64_e32 v4, v[42:43]
	v_cvt_f32_f64_e32 v5, v[44:45]
	v_mul_f64 v[42:43], v[46:47], s[0:1]
	v_mul_f64 v[44:45], v[48:49], s[0:1]
	v_cvt_f64_f32_e32 v[60:61], v7
	v_add_co_u32 v46, vcc_lo, v68, s3
	v_add_co_ci_u32_e32 v47, vcc_lo, s2, v69, vcc_lo
	global_store_b64 v[68:69], v[12:13], off
	ds_load_2addr_b64 v[12:15], v6 offset0:48 offset1:64
	s_waitcnt lgkmcnt(1)
	v_mul_f32_e32 v19, v168, v0
	s_delay_alu instid0(VALU_DEP_1)
	v_fma_f32 v19, v167, v1, -v19
	v_mul_f64 v[32:33], v[32:33], s[0:1]
	v_mul_f64 v[48:49], v[50:51], s[0:1]
	;; [unrolled: 1-line block ×5, first 2 shown]
	v_cvt_f64_f32_e32 v[62:63], v19
	v_cvt_f32_f64_e32 v19, v[26:27]
	v_mul_f64 v[52:53], v[58:59], s[0:1]
	v_mul_f64 v[58:59], v[64:65], s[0:1]
	;; [unrolled: 1-line block ×3, first 2 shown]
	v_mul_f32_e32 v64, v172, v22
	s_waitcnt lgkmcnt(0)
	v_mul_f32_e32 v65, v180, v13
	global_store_b64 v[46:47], v[4:5], off
	v_cvt_f32_f64_e32 v42, v[42:43]
	v_cvt_f32_f64_e32 v43, v[44:45]
	v_mul_f64 v[54:55], v[60:61], s[0:1]
	v_mul_f64 v[60:61], v[66:67], s[0:1]
	v_add_co_u32 v46, vcc_lo, v46, s3
	v_add_co_ci_u32_e32 v47, vcc_lo, s2, v47, vcc_lo
	v_mul_f32_e32 v66, v180, v12
	s_delay_alu instid0(VALU_DEP_3) | instskip(NEXT) | instid1(VALU_DEP_3)
	v_add_co_u32 v44, vcc_lo, v46, s3
	v_add_co_ci_u32_e32 v45, vcc_lo, s2, v47, vcc_lo
	v_fmac_f32_e32 v65, v179, v12
	v_cvt_f32_f64_e32 v48, v[48:49]
	v_cvt_f32_f64_e32 v49, v[50:51]
	v_cvt_f32_f64_e32 v28, v[28:29]
	v_cvt_f32_f64_e32 v29, v[32:33]
	v_add_co_u32 v32, vcc_lo, v44, s3
	global_store_b64 v[46:47], v[18:19], off
	v_mul_f32_e32 v46, v164, v21
	v_mul_f32_e32 v7, v168, v1
	v_cvt_f32_f64_e32 v52, v[52:53]
	v_cvt_f32_f64_e32 v53, v[36:37]
	;; [unrolled: 1-line block ×3, first 2 shown]
	v_fmac_f32_e32 v46, v163, v20
	v_fmac_f32_e32 v7, v167, v0
	v_add_co_ci_u32_e32 v33, vcc_lo, s2, v45, vcc_lo
	global_store_b64 v[44:45], v[42:43], off
	v_mul_f32_e32 v44, v170, v35
	v_cvt_f64_f32_e32 v[0:1], v7
	v_mul_f32_e32 v7, v172, v23
	v_cvt_f32_f64_e32 v36, v[54:55]
	v_cvt_f32_f64_e32 v54, v[58:59]
	;; [unrolled: 1-line block ×3, first 2 shown]
	v_mad_u64_u32 v[50:51], null, 0xfffff300, s4, v[32:33]
	v_fmac_f32_e32 v7, v171, v22
	v_fma_f32 v22, v171, v23, -v64
	v_fma_f32 v64, v179, v13, -v66
	v_fmac_f32_e32 v44, v169, v34
	v_mul_f64 v[56:57], v[62:63], s[0:1]
	v_cvt_f64_f32_e32 v[12:13], v7
	ds_load_2addr_b64 v[4:7], v6 offset0:144 offset1:160
	v_add_nc_u32_e32 v51, s5, v51
	v_mul_f32_e32 v47, v164, v20
	v_cvt_f64_f32_e32 v[22:23], v22
	s_waitcnt lgkmcnt(0)
	v_mul_f32_e32 v58, v176, v5
	v_mul_f32_e32 v59, v176, v4
	s_delay_alu instid0(VALU_DEP_2) | instskip(SKIP_1) | instid1(VALU_DEP_3)
	v_fmac_f32_e32 v58, v175, v4
	v_add_co_u32 v4, vcc_lo, v50, s3
	v_fma_f32 v60, v175, v5, -v59
	v_add_co_ci_u32_e32 v5, vcc_lo, s2, v51, vcc_lo
	s_delay_alu instid0(VALU_DEP_3) | instskip(NEXT) | instid1(VALU_DEP_3)
	v_add_co_u32 v62, vcc_lo, v4, s3
	v_cvt_f64_f32_e32 v[60:61], v60
	s_delay_alu instid0(VALU_DEP_3) | instskip(NEXT) | instid1(VALU_DEP_3)
	v_add_co_ci_u32_e32 v63, vcc_lo, s2, v5, vcc_lo
	v_add_co_u32 v42, vcc_lo, v62, s3
	v_cvt_f64_f32_e32 v[58:59], v58
	s_delay_alu instid0(VALU_DEP_3)
	v_add_co_ci_u32_e32 v43, vcc_lo, s2, v63, vcc_lo
	global_store_b64 v[32:33], v[28:29], off
	global_store_b64 v[50:51], v[48:49], off
	;; [unrolled: 1-line block ×5, first 2 shown]
	v_mul_f32_e32 v48, v186, v39
	v_fma_f32 v47, v163, v21, -v47
	v_cvt_f64_f32_e32 v[20:21], v46
	v_mul_f32_e32 v28, v166, v30
	v_add_co_u32 v4, vcc_lo, v42, s3
	v_fmac_f32_e32 v48, v185, v38
	v_cvt_f64_f32_e32 v[46:47], v47
	s_delay_alu instid0(VALU_DEP_4)
	v_fma_f32 v42, v165, v31, -v28
	v_mul_f64 v[0:1], v[0:1], s[0:1]
	v_mul_f64 v[12:13], v[12:13], s[0:1]
	;; [unrolled: 1-line block ×3, first 2 shown]
	v_mul_f32_e32 v36, v166, v31
	v_mul_f32_e32 v50, v184, v17
	v_add_co_ci_u32_e32 v5, vcc_lo, s2, v43, vcc_lo
	v_cvt_f64_f32_e32 v[42:43], v42
	s_delay_alu instid0(VALU_DEP_4) | instskip(SKIP_2) | instid1(VALU_DEP_3)
	v_fmac_f32_e32 v36, v165, v30
	v_dual_mul_f32 v38, v186, v38 :: v_dual_mul_f32 v51, v184, v16
	v_dual_mul_f32 v52, v188, v3 :: v_dual_mul_f32 v55, v190, v10
	v_cvt_f64_f32_e32 v[36:37], v36
	v_dual_mul_f32 v53, v188, v2 :: v_dual_fmac_f32 v50, v183, v16
	s_delay_alu instid0(VALU_DEP_4)
	v_fma_f32 v38, v185, v39, -v38
	v_fma_f32 v39, v183, v17, -v51
	v_mul_f32_e32 v54, v190, v11
	v_cvt_f64_f32_e32 v[48:49], v48
	v_mul_f64 v[32:33], v[60:61], s[0:1]
	v_dual_fmac_f32 v52, v187, v2 :: v_dual_mul_f32 v63, v212, v40
	v_fma_f32 v53, v187, v3, -v53
	v_cvt_f64_f32_e32 v[2:3], v38
	v_mul_f64 v[30:31], v[58:59], s[0:1]
	v_mul_f32_e32 v58, v194, v25
	v_cvt_f64_f32_e32 v[16:17], v50
	v_cvt_f64_f32_e32 v[38:39], v39
	v_mul_f32_e32 v60, v210, v7
	v_mul_f32_e32 v61, v210, v6
	v_mul_f64 v[20:21], v[20:21], s[0:1]
	v_fmac_f32_e32 v58, v193, v24
	v_mul_f32_e32 v24, v194, v24
	v_mul_f32_e32 v62, v212, v41
	v_fma_f32 v55, v189, v11, -v55
	v_mul_f64 v[28:29], v[46:47], s[0:1]
	v_mul_f32_e32 v46, v182, v9
	v_cvt_f64_f32_e32 v[26:27], v65
	v_cvt_f64_f32_e32 v[64:65], v64
	v_mul_f32_e32 v45, v170, v34
	v_mul_f32_e32 v47, v182, v8
	v_fmac_f32_e32 v46, v181, v8
	v_cvt_f32_f64_e32 v0, v[0:1]
	v_cvt_f32_f64_e32 v1, v[56:57]
	v_fma_f32 v34, v169, v35, -v45
	v_fma_f32 v47, v181, v9, -v47
	v_cvt_f64_f32_e32 v[8:9], v44
	v_cvt_f64_f32_e32 v[44:45], v46
	v_cvt_f32_f64_e32 v12, v[12:13]
	v_cvt_f64_f32_e32 v[34:35], v34
	v_cvt_f64_f32_e32 v[46:47], v47
	v_cvt_f32_f64_e32 v13, v[18:19]
	v_add_co_u32 v18, vcc_lo, v4, s3
	v_add_co_ci_u32_e32 v19, vcc_lo, s2, v5, vcc_lo
	v_mul_f32_e32 v56, v200, v15
	v_mul_f32_e32 v57, v200, v14
	v_cvt_f64_f32_e32 v[50:51], v52
	v_cvt_f64_f32_e32 v[52:53], v53
	v_fma_f32 v24, v193, v25, -v24
	v_fmac_f32_e32 v56, v199, v14
	v_fma_f32 v57, v199, v15, -v57
	v_fmac_f32_e32 v60, v209, v6
	;; [unrolled: 2-line block ×3, first 2 shown]
	v_fma_f32 v63, v211, v41, -v63
	v_cvt_f64_f32_e32 v[14:15], v55
	v_cvt_f32_f64_e32 v20, v[20:21]
	v_cvt_f64_f32_e32 v[58:59], v58
	v_cvt_f64_f32_e32 v[6:7], v24
	v_cvt_f64_f32_e32 v[24:25], v60
	v_cvt_f64_f32_e32 v[40:41], v61
	v_cvt_f32_f64_e32 v21, v[28:29]
	v_cvt_f32_f64_e32 v29, v[32:33]
	v_mul_f64 v[22:23], v[26:27], s[0:1]
	v_mul_f64 v[26:27], v[64:65], s[0:1]
	v_cvt_f32_f64_e32 v28, v[30:31]
	v_mul_f64 v[30:31], v[42:43], s[0:1]
	v_cvt_f64_f32_e32 v[60:61], v62
	v_cvt_f64_f32_e32 v[62:63], v63
	global_store_b64 v[4:5], v[0:1], off
	v_mul_f64 v[36:37], v[36:37], s[0:1]
	v_mul_f64 v[48:49], v[48:49], s[0:1]
	;; [unrolled: 1-line block ×16, first 2 shown]
	v_cvt_f32_f64_e32 v22, v[22:23]
	v_cvt_f32_f64_e32 v23, v[26:27]
	v_add_co_u32 v26, vcc_lo, v18, s3
	v_add_co_ci_u32_e32 v27, vcc_lo, s2, v19, vcc_lo
	v_mul_f64 v[60:61], v[60:61], s[0:1]
	s_delay_alu instid0(VALU_DEP_3) | instskip(NEXT) | instid1(VALU_DEP_3)
	v_add_co_u32 v34, vcc_lo, v26, s3
	v_add_co_ci_u32_e32 v35, vcc_lo, s2, v27, vcc_lo
	v_mul_f64 v[62:63], v[62:63], s[0:1]
	s_delay_alu instid0(VALU_DEP_3) | instskip(NEXT) | instid1(VALU_DEP_3)
	v_add_co_u32 v46, vcc_lo, v34, s3
	v_add_co_ci_u32_e32 v47, vcc_lo, s2, v35, vcc_lo
	v_cvt_f32_f64_e32 v0, v[36:37]
	s_delay_alu instid0(VALU_DEP_3) | instskip(NEXT) | instid1(VALU_DEP_3)
	v_add_co_u32 v64, vcc_lo, v46, s3
	v_add_co_ci_u32_e32 v65, vcc_lo, s2, v47, vcc_lo
	v_cvt_f32_f64_e32 v1, v[30:31]
	v_cvt_f32_f64_e32 v8, v[8:9]
	;; [unrolled: 1-line block ×3, first 2 shown]
	s_delay_alu instid0(VALU_DEP_4)
	v_mad_u64_u32 v[4:5], null, 0xfffff300, s4, v[64:65]
	v_fmac_f32_e32 v54, v189, v10
	global_store_b64 v[18:19], v[12:13], off
	global_store_b64 v[26:27], v[22:23], off
	;; [unrolled: 1-line block ×3, first 2 shown]
	v_add_nc_u32_e32 v5, s5, v5
	v_cvt_f64_f32_e32 v[10:11], v54
	v_cvt_f64_f32_e32 v[54:55], v56
	;; [unrolled: 1-line block ×3, first 2 shown]
	v_cvt_f32_f64_e32 v12, v[42:43]
	v_cvt_f32_f64_e32 v13, v[44:45]
	;; [unrolled: 1-line block ×6, first 2 shown]
	v_add_co_u32 v18, vcc_lo, v4, s3
	v_add_co_ci_u32_e32 v19, vcc_lo, s2, v5, vcc_lo
	v_cvt_f32_f64_e32 v22, v[50:51]
	v_cvt_f32_f64_e32 v23, v[52:53]
	s_delay_alu instid0(VALU_DEP_4) | instskip(NEXT) | instid1(VALU_DEP_4)
	v_add_co_u32 v16, vcc_lo, v18, s3
	v_add_co_ci_u32_e32 v17, vcc_lo, s2, v19, vcc_lo
	v_cvt_f32_f64_e32 v26, v[58:59]
	v_cvt_f32_f64_e32 v27, v[6:7]
	;; [unrolled: 1-line block ×6, first 2 shown]
	global_store_b64 v[46:47], v[28:29], off
	v_add_co_u32 v28, vcc_lo, v16, s3
	v_add_co_ci_u32_e32 v29, vcc_lo, s2, v17, vcc_lo
	global_store_b64 v[64:65], v[0:1], off
	v_add_co_u32 v0, vcc_lo, v28, s3
	v_add_co_ci_u32_e32 v1, vcc_lo, s2, v29, vcc_lo
	global_store_b64 v[4:5], v[8:9], off
	v_add_co_u32 v4, vcc_lo, v0, s3
	v_mul_f64 v[10:11], v[10:11], s[0:1]
	v_mul_f64 v[54:55], v[54:55], s[0:1]
	;; [unrolled: 1-line block ×3, first 2 shown]
	v_add_co_ci_u32_e32 v5, vcc_lo, s2, v1, vcc_lo
	v_add_co_u32 v8, vcc_lo, v4, s3
	global_store_b64 v[18:19], v[12:13], off
	v_add_co_ci_u32_e32 v9, vcc_lo, s2, v5, vcc_lo
	v_add_co_u32 v12, vcc_lo, v8, s3
	global_store_b64 v[16:17], v[20:21], off
	v_add_co_ci_u32_e32 v13, vcc_lo, s2, v9, vcc_lo
	global_store_b64 v[28:29], v[2:3], off
	v_add_co_u32 v2, vcc_lo, v12, s3
	v_add_co_ci_u32_e32 v3, vcc_lo, s2, v13, vcc_lo
	global_store_b64 v[0:1], v[22:23], off
	v_add_co_u32 v0, vcc_lo, v2, s3
	v_add_co_ci_u32_e32 v1, vcc_lo, s2, v3, vcc_lo
	v_cvt_f32_f64_e32 v10, v[10:11]
	v_cvt_f32_f64_e32 v11, v[14:15]
	;; [unrolled: 1-line block ×4, first 2 shown]
	global_store_b64 v[4:5], v[10:11], off
	global_store_b64 v[8:9], v[14:15], off
	;; [unrolled: 1-line block ×5, first 2 shown]
.LBB0_10:
	s_nop 0
	s_sendmsg sendmsg(MSG_DEALLOC_VGPRS)
	s_endpgm
	.section	.rodata,"a",@progbits
	.p2align	6, 0x0
	.amdhsa_kernel bluestein_single_fwd_len480_dim1_sp_op_CI_CI
		.amdhsa_group_segment_fixed_size 15360
		.amdhsa_private_segment_fixed_size 68
		.amdhsa_kernarg_size 104
		.amdhsa_user_sgpr_count 15
		.amdhsa_user_sgpr_dispatch_ptr 0
		.amdhsa_user_sgpr_queue_ptr 0
		.amdhsa_user_sgpr_kernarg_segment_ptr 1
		.amdhsa_user_sgpr_dispatch_id 0
		.amdhsa_user_sgpr_private_segment_size 0
		.amdhsa_wavefront_size32 1
		.amdhsa_uses_dynamic_stack 0
		.amdhsa_enable_private_segment 1
		.amdhsa_system_sgpr_workgroup_id_x 1
		.amdhsa_system_sgpr_workgroup_id_y 0
		.amdhsa_system_sgpr_workgroup_id_z 0
		.amdhsa_system_sgpr_workgroup_info 0
		.amdhsa_system_vgpr_workitem_id 0
		.amdhsa_next_free_vgpr 256
		.amdhsa_next_free_sgpr 20
		.amdhsa_reserve_vcc 1
		.amdhsa_float_round_mode_32 0
		.amdhsa_float_round_mode_16_64 0
		.amdhsa_float_denorm_mode_32 3
		.amdhsa_float_denorm_mode_16_64 3
		.amdhsa_dx10_clamp 1
		.amdhsa_ieee_mode 1
		.amdhsa_fp16_overflow 0
		.amdhsa_workgroup_processor_mode 1
		.amdhsa_memory_ordered 1
		.amdhsa_forward_progress 0
		.amdhsa_shared_vgpr_count 0
		.amdhsa_exception_fp_ieee_invalid_op 0
		.amdhsa_exception_fp_denorm_src 0
		.amdhsa_exception_fp_ieee_div_zero 0
		.amdhsa_exception_fp_ieee_overflow 0
		.amdhsa_exception_fp_ieee_underflow 0
		.amdhsa_exception_fp_ieee_inexact 0
		.amdhsa_exception_int_div_zero 0
	.end_amdhsa_kernel
	.text
.Lfunc_end0:
	.size	bluestein_single_fwd_len480_dim1_sp_op_CI_CI, .Lfunc_end0-bluestein_single_fwd_len480_dim1_sp_op_CI_CI
                                        ; -- End function
	.section	.AMDGPU.csdata,"",@progbits
; Kernel info:
; codeLenInByte = 22484
; NumSgprs: 22
; NumVgprs: 256
; ScratchSize: 68
; MemoryBound: 0
; FloatMode: 240
; IeeeMode: 1
; LDSByteSize: 15360 bytes/workgroup (compile time only)
; SGPRBlocks: 2
; VGPRBlocks: 31
; NumSGPRsForWavesPerEU: 22
; NumVGPRsForWavesPerEU: 256
; Occupancy: 4
; WaveLimiterHint : 1
; COMPUTE_PGM_RSRC2:SCRATCH_EN: 1
; COMPUTE_PGM_RSRC2:USER_SGPR: 15
; COMPUTE_PGM_RSRC2:TRAP_HANDLER: 0
; COMPUTE_PGM_RSRC2:TGID_X_EN: 1
; COMPUTE_PGM_RSRC2:TGID_Y_EN: 0
; COMPUTE_PGM_RSRC2:TGID_Z_EN: 0
; COMPUTE_PGM_RSRC2:TIDIG_COMP_CNT: 0
	.text
	.p2alignl 7, 3214868480
	.fill 96, 4, 3214868480
	.type	__hip_cuid_5e8ac7b19000acfc,@object ; @__hip_cuid_5e8ac7b19000acfc
	.section	.bss,"aw",@nobits
	.globl	__hip_cuid_5e8ac7b19000acfc
__hip_cuid_5e8ac7b19000acfc:
	.byte	0                               ; 0x0
	.size	__hip_cuid_5e8ac7b19000acfc, 1

	.ident	"AMD clang version 19.0.0git (https://github.com/RadeonOpenCompute/llvm-project roc-6.4.0 25133 c7fe45cf4b819c5991fe208aaa96edf142730f1d)"
	.section	".note.GNU-stack","",@progbits
	.addrsig
	.addrsig_sym __hip_cuid_5e8ac7b19000acfc
	.amdgpu_metadata
---
amdhsa.kernels:
  - .args:
      - .actual_access:  read_only
        .address_space:  global
        .offset:         0
        .size:           8
        .value_kind:     global_buffer
      - .actual_access:  read_only
        .address_space:  global
        .offset:         8
        .size:           8
        .value_kind:     global_buffer
      - .actual_access:  read_only
        .address_space:  global
        .offset:         16
        .size:           8
        .value_kind:     global_buffer
      - .actual_access:  read_only
        .address_space:  global
        .offset:         24
        .size:           8
        .value_kind:     global_buffer
      - .actual_access:  read_only
        .address_space:  global
        .offset:         32
        .size:           8
        .value_kind:     global_buffer
      - .offset:         40
        .size:           8
        .value_kind:     by_value
      - .address_space:  global
        .offset:         48
        .size:           8
        .value_kind:     global_buffer
      - .address_space:  global
        .offset:         56
        .size:           8
        .value_kind:     global_buffer
      - .address_space:  global
        .offset:         64
        .size:           8
        .value_kind:     global_buffer
      - .address_space:  global
        .offset:         72
        .size:           8
        .value_kind:     global_buffer
      - .offset:         80
        .size:           4
        .value_kind:     by_value
      - .address_space:  global
        .offset:         88
        .size:           8
        .value_kind:     global_buffer
      - .address_space:  global
        .offset:         96
        .size:           8
        .value_kind:     global_buffer
    .group_segment_fixed_size: 15360
    .kernarg_segment_align: 8
    .kernarg_segment_size: 104
    .language:       OpenCL C
    .language_version:
      - 2
      - 0
    .max_flat_workgroup_size: 64
    .name:           bluestein_single_fwd_len480_dim1_sp_op_CI_CI
    .private_segment_fixed_size: 68
    .sgpr_count:     22
    .sgpr_spill_count: 0
    .symbol:         bluestein_single_fwd_len480_dim1_sp_op_CI_CI.kd
    .uniform_work_group_size: 1
    .uses_dynamic_stack: false
    .vgpr_count:     256
    .vgpr_spill_count: 16
    .wavefront_size: 32
    .workgroup_processor_mode: 1
amdhsa.target:   amdgcn-amd-amdhsa--gfx1100
amdhsa.version:
  - 1
  - 2
...

	.end_amdgpu_metadata
